;; amdgpu-corpus repo=ROCm/hipCUB kind=compiled arch=gfx1100 opt=O3
	.text
	.amdgcn_target "amdgcn-amd-amdhsa--gfx1100"
	.amdhsa_code_object_version 6
	.section	.text._Z18warp_reduce_kernelIiLj15ELj100EENSt9enable_ifIXsr15benchmark_utilsE35device_test_enabled_for_warp_size_vIXT0_EEEvE4typeEPKT_PS3_,"axG",@progbits,_Z18warp_reduce_kernelIiLj15ELj100EENSt9enable_ifIXsr15benchmark_utilsE35device_test_enabled_for_warp_size_vIXT0_EEEvE4typeEPKT_PS3_,comdat
	.protected	_Z18warp_reduce_kernelIiLj15ELj100EENSt9enable_ifIXsr15benchmark_utilsE35device_test_enabled_for_warp_size_vIXT0_EEEvE4typeEPKT_PS3_ ; -- Begin function _Z18warp_reduce_kernelIiLj15ELj100EENSt9enable_ifIXsr15benchmark_utilsE35device_test_enabled_for_warp_size_vIXT0_EEEvE4typeEPKT_PS3_
	.globl	_Z18warp_reduce_kernelIiLj15ELj100EENSt9enable_ifIXsr15benchmark_utilsE35device_test_enabled_for_warp_size_vIXT0_EEEvE4typeEPKT_PS3_
	.p2align	8
	.type	_Z18warp_reduce_kernelIiLj15ELj100EENSt9enable_ifIXsr15benchmark_utilsE35device_test_enabled_for_warp_size_vIXT0_EEEvE4typeEPKT_PS3_,@function
_Z18warp_reduce_kernelIiLj15ELj100EENSt9enable_ifIXsr15benchmark_utilsE35device_test_enabled_for_warp_size_vIXT0_EEEvE4typeEPKT_PS3_: ; @_Z18warp_reduce_kernelIiLj15ELj100EENSt9enable_ifIXsr15benchmark_utilsE35device_test_enabled_for_warp_size_vIXT0_EEEvE4typeEPKT_PS3_
; %bb.0:
	s_clause 0x1
	s_load_b32 s2, s[0:1], 0x1c
	s_load_b128 s[4:7], s[0:1], 0x0
	s_movk_i32 s3, 0x64
	s_waitcnt lgkmcnt(0)
	s_and_b32 s0, s2, 0xffff
	s_delay_alu instid0(SALU_CYCLE_1) | instskip(SKIP_1) | instid1(VALU_DEP_1)
	v_mad_u64_u32 v[1:2], null, s15, s0, v[0:1]
	v_mov_b32_e32 v2, 0
	v_lshlrev_b64 v[0:1], 2, v[1:2]
	s_delay_alu instid0(VALU_DEP_1) | instskip(NEXT) | instid1(VALU_DEP_2)
	v_add_co_u32 v3, vcc_lo, s4, v0
	v_add_co_ci_u32_e32 v4, vcc_lo, s5, v1, vcc_lo
	global_load_b32 v3, v[3:4], off
	v_mbcnt_lo_u32_b32 v4, -1, 0
	s_delay_alu instid0(VALU_DEP_1) | instskip(NEXT) | instid1(VALU_DEP_1)
	v_mul_hi_u32 v5, 0x11111112, v4
	v_mul_u32_u24_e32 v5, 15, v5
	s_delay_alu instid0(VALU_DEP_1) | instskip(NEXT) | instid1(VALU_DEP_1)
	v_sub_nc_u32_e32 v5, v4, v5
	v_lshlrev_b32_e32 v4, 2, v5
	v_cmp_gt_u32_e32 vcc_lo, 7, v5
	v_cmp_gt_u32_e64 s0, 4, v5
	v_cmp_gt_u32_e64 s1, 2, v5
	v_cmp_eq_u32_e64 s2, 0, v5
	s_branch .LBB0_2
.LBB0_1:                                ;   in Loop: Header=BB0_2 Depth=1
	s_or_b32 exec_lo, exec_lo, s4
	s_add_i32 s3, s3, -1
	s_delay_alu instid0(SALU_CYCLE_1)
	s_cmp_eq_u32 s3, 0
	; wave barrier
	s_cbranch_scc1 .LBB0_18
.LBB0_2:                                ; =>This Inner Loop Header: Depth=1
	s_waitcnt vmcnt(0)
	ds_store_b32 v4, v3
	; wave barrier
	s_and_saveexec_b32 s4, vcc_lo
	s_cbranch_execz .LBB0_4
; %bb.3:                                ;   in Loop: Header=BB0_2 Depth=1
	ds_load_2addr_b32 v[5:6], v4 offset1:8
	s_waitcnt lgkmcnt(0)
	v_add_nc_u32_e32 v3, v6, v5
.LBB0_4:                                ;   in Loop: Header=BB0_2 Depth=1
	s_or_b32 exec_lo, exec_lo, s4
	; wave barrier
	s_and_saveexec_b32 s4, vcc_lo
	s_cbranch_execz .LBB0_6
; %bb.5:                                ;   in Loop: Header=BB0_2 Depth=1
	ds_store_b32 v4, v3
.LBB0_6:                                ;   in Loop: Header=BB0_2 Depth=1
	s_or_b32 exec_lo, exec_lo, s4
	; wave barrier
	s_and_saveexec_b32 s4, s0
	s_cbranch_execz .LBB0_8
; %bb.7:                                ;   in Loop: Header=BB0_2 Depth=1
	ds_load_2addr_b32 v[5:6], v4 offset1:4
	s_waitcnt lgkmcnt(0)
	v_add_nc_u32_e32 v3, v6, v5
.LBB0_8:                                ;   in Loop: Header=BB0_2 Depth=1
	s_or_b32 exec_lo, exec_lo, s4
	; wave barrier
	s_and_saveexec_b32 s4, s0
	s_cbranch_execz .LBB0_10
; %bb.9:                                ;   in Loop: Header=BB0_2 Depth=1
	ds_store_b32 v4, v3
.LBB0_10:                               ;   in Loop: Header=BB0_2 Depth=1
	s_or_b32 exec_lo, exec_lo, s4
	; wave barrier
	s_and_saveexec_b32 s4, s1
	s_cbranch_execz .LBB0_12
; %bb.11:                               ;   in Loop: Header=BB0_2 Depth=1
	ds_load_2addr_b32 v[5:6], v4 offset1:2
	s_waitcnt lgkmcnt(0)
	v_add_nc_u32_e32 v3, v6, v5
.LBB0_12:                               ;   in Loop: Header=BB0_2 Depth=1
	s_or_b32 exec_lo, exec_lo, s4
	; wave barrier
	s_and_saveexec_b32 s4, s1
	s_cbranch_execz .LBB0_14
; %bb.13:                               ;   in Loop: Header=BB0_2 Depth=1
	ds_store_b32 v4, v3
.LBB0_14:                               ;   in Loop: Header=BB0_2 Depth=1
	s_or_b32 exec_lo, exec_lo, s4
	; wave barrier
	s_and_saveexec_b32 s4, s2
	s_cbranch_execz .LBB0_16
; %bb.15:                               ;   in Loop: Header=BB0_2 Depth=1
	ds_load_b32 v3, v4
	ds_load_b32 v5, v2 offset:4
	s_waitcnt lgkmcnt(0)
	v_add_nc_u32_e32 v3, v5, v3
.LBB0_16:                               ;   in Loop: Header=BB0_2 Depth=1
	s_or_b32 exec_lo, exec_lo, s4
	; wave barrier
	s_and_saveexec_b32 s4, s2
	s_cbranch_execz .LBB0_1
; %bb.17:                               ;   in Loop: Header=BB0_2 Depth=1
	ds_store_b32 v4, v3
	s_branch .LBB0_1
.LBB0_18:
	v_add_co_u32 v0, vcc_lo, s6, v0
	v_add_co_ci_u32_e32 v1, vcc_lo, s7, v1, vcc_lo
	global_store_b32 v[0:1], v3, off
	s_nop 0
	s_sendmsg sendmsg(MSG_DEALLOC_VGPRS)
	s_endpgm
	.section	.rodata,"a",@progbits
	.p2align	6, 0x0
	.amdhsa_kernel _Z18warp_reduce_kernelIiLj15ELj100EENSt9enable_ifIXsr15benchmark_utilsE35device_test_enabled_for_warp_size_vIXT0_EEEvE4typeEPKT_PS3_
		.amdhsa_group_segment_fixed_size 60
		.amdhsa_private_segment_fixed_size 0
		.amdhsa_kernarg_size 272
		.amdhsa_user_sgpr_count 15
		.amdhsa_user_sgpr_dispatch_ptr 0
		.amdhsa_user_sgpr_queue_ptr 0
		.amdhsa_user_sgpr_kernarg_segment_ptr 1
		.amdhsa_user_sgpr_dispatch_id 0
		.amdhsa_user_sgpr_private_segment_size 0
		.amdhsa_wavefront_size32 1
		.amdhsa_uses_dynamic_stack 0
		.amdhsa_enable_private_segment 0
		.amdhsa_system_sgpr_workgroup_id_x 1
		.amdhsa_system_sgpr_workgroup_id_y 0
		.amdhsa_system_sgpr_workgroup_id_z 0
		.amdhsa_system_sgpr_workgroup_info 0
		.amdhsa_system_vgpr_workitem_id 0
		.amdhsa_next_free_vgpr 7
		.amdhsa_next_free_sgpr 16
		.amdhsa_reserve_vcc 1
		.amdhsa_float_round_mode_32 0
		.amdhsa_float_round_mode_16_64 0
		.amdhsa_float_denorm_mode_32 3
		.amdhsa_float_denorm_mode_16_64 3
		.amdhsa_dx10_clamp 1
		.amdhsa_ieee_mode 1
		.amdhsa_fp16_overflow 0
		.amdhsa_workgroup_processor_mode 1
		.amdhsa_memory_ordered 1
		.amdhsa_forward_progress 0
		.amdhsa_shared_vgpr_count 0
		.amdhsa_exception_fp_ieee_invalid_op 0
		.amdhsa_exception_fp_denorm_src 0
		.amdhsa_exception_fp_ieee_div_zero 0
		.amdhsa_exception_fp_ieee_overflow 0
		.amdhsa_exception_fp_ieee_underflow 0
		.amdhsa_exception_fp_ieee_inexact 0
		.amdhsa_exception_int_div_zero 0
	.end_amdhsa_kernel
	.section	.text._Z18warp_reduce_kernelIiLj15ELj100EENSt9enable_ifIXsr15benchmark_utilsE35device_test_enabled_for_warp_size_vIXT0_EEEvE4typeEPKT_PS3_,"axG",@progbits,_Z18warp_reduce_kernelIiLj15ELj100EENSt9enable_ifIXsr15benchmark_utilsE35device_test_enabled_for_warp_size_vIXT0_EEEvE4typeEPKT_PS3_,comdat
.Lfunc_end0:
	.size	_Z18warp_reduce_kernelIiLj15ELj100EENSt9enable_ifIXsr15benchmark_utilsE35device_test_enabled_for_warp_size_vIXT0_EEEvE4typeEPKT_PS3_, .Lfunc_end0-_Z18warp_reduce_kernelIiLj15ELj100EENSt9enable_ifIXsr15benchmark_utilsE35device_test_enabled_for_warp_size_vIXT0_EEEvE4typeEPKT_PS3_
                                        ; -- End function
	.section	.AMDGPU.csdata,"",@progbits
; Kernel info:
; codeLenInByte = 420
; NumSgprs: 18
; NumVgprs: 7
; ScratchSize: 0
; MemoryBound: 0
; FloatMode: 240
; IeeeMode: 1
; LDSByteSize: 60 bytes/workgroup (compile time only)
; SGPRBlocks: 2
; VGPRBlocks: 0
; NumSGPRsForWavesPerEU: 18
; NumVGPRsForWavesPerEU: 7
; Occupancy: 16
; WaveLimiterHint : 0
; COMPUTE_PGM_RSRC2:SCRATCH_EN: 0
; COMPUTE_PGM_RSRC2:USER_SGPR: 15
; COMPUTE_PGM_RSRC2:TRAP_HANDLER: 0
; COMPUTE_PGM_RSRC2:TGID_X_EN: 1
; COMPUTE_PGM_RSRC2:TGID_Y_EN: 0
; COMPUTE_PGM_RSRC2:TGID_Z_EN: 0
; COMPUTE_PGM_RSRC2:TIDIG_COMP_CNT: 0
	.section	.text._Z18warp_reduce_kernelIiLj16ELj100EENSt9enable_ifIXsr15benchmark_utilsE35device_test_enabled_for_warp_size_vIXT0_EEEvE4typeEPKT_PS3_,"axG",@progbits,_Z18warp_reduce_kernelIiLj16ELj100EENSt9enable_ifIXsr15benchmark_utilsE35device_test_enabled_for_warp_size_vIXT0_EEEvE4typeEPKT_PS3_,comdat
	.protected	_Z18warp_reduce_kernelIiLj16ELj100EENSt9enable_ifIXsr15benchmark_utilsE35device_test_enabled_for_warp_size_vIXT0_EEEvE4typeEPKT_PS3_ ; -- Begin function _Z18warp_reduce_kernelIiLj16ELj100EENSt9enable_ifIXsr15benchmark_utilsE35device_test_enabled_for_warp_size_vIXT0_EEEvE4typeEPKT_PS3_
	.globl	_Z18warp_reduce_kernelIiLj16ELj100EENSt9enable_ifIXsr15benchmark_utilsE35device_test_enabled_for_warp_size_vIXT0_EEEvE4typeEPKT_PS3_
	.p2align	8
	.type	_Z18warp_reduce_kernelIiLj16ELj100EENSt9enable_ifIXsr15benchmark_utilsE35device_test_enabled_for_warp_size_vIXT0_EEEvE4typeEPKT_PS3_,@function
_Z18warp_reduce_kernelIiLj16ELj100EENSt9enable_ifIXsr15benchmark_utilsE35device_test_enabled_for_warp_size_vIXT0_EEEvE4typeEPKT_PS3_: ; @_Z18warp_reduce_kernelIiLj16ELj100EENSt9enable_ifIXsr15benchmark_utilsE35device_test_enabled_for_warp_size_vIXT0_EEEvE4typeEPKT_PS3_
; %bb.0:
	s_clause 0x1
	s_load_b32 s4, s[0:1], 0x1c
	s_load_b128 s[0:3], s[0:1], 0x0
	v_mbcnt_lo_u32_b32 v6, -1, 0
	s_waitcnt lgkmcnt(0)
	s_and_b32 s4, s4, 0xffff
	s_delay_alu instid0(SALU_CYCLE_1) | instskip(SKIP_1) | instid1(VALU_DEP_1)
	v_mad_u64_u32 v[1:2], null, s15, s4, v[0:1]
	v_mov_b32_e32 v2, 0
	v_lshlrev_b64 v[0:1], 2, v[1:2]
	s_delay_alu instid0(VALU_DEP_1) | instskip(NEXT) | instid1(VALU_DEP_2)
	v_add_co_u32 v2, vcc_lo, s0, v0
	v_add_co_ci_u32_e32 v3, vcc_lo, s1, v1, vcc_lo
	s_movk_i32 s0, 0x64
	global_load_b32 v2, v[2:3], off
	v_and_b32_e32 v3, 15, v6
	s_delay_alu instid0(VALU_DEP_1) | instskip(SKIP_2) | instid1(VALU_DEP_2)
	v_cmp_gt_u32_e32 vcc_lo, 14, v3
	v_cndmask_b32_e64 v4, 0, 1, vcc_lo
	v_cmp_gt_u32_e32 vcc_lo, 12, v3
	v_lshlrev_b32_e32 v4, 1, v4
	v_cndmask_b32_e64 v5, 0, 1, vcc_lo
	v_cmp_gt_u32_e32 vcc_lo, 8, v3
	s_delay_alu instid0(VALU_DEP_3) | instskip(NEXT) | instid1(VALU_DEP_3)
	v_add_lshl_u32 v4, v4, v6, 2
	v_lshlrev_b32_e32 v5, 2, v5
	v_cndmask_b32_e64 v7, 0, 1, vcc_lo
	v_cmp_ne_u32_e32 vcc_lo, 15, v3
	s_delay_alu instid0(VALU_DEP_3) | instskip(NEXT) | instid1(VALU_DEP_3)
	v_add_lshl_u32 v5, v5, v6, 2
	v_lshlrev_b32_e32 v7, 3, v7
	v_add_co_ci_u32_e32 v3, vcc_lo, 0, v6, vcc_lo
	s_delay_alu instid0(VALU_DEP_2) | instskip(NEXT) | instid1(VALU_DEP_2)
	v_add_lshl_u32 v6, v7, v6, 2
	v_lshlrev_b32_e32 v3, 2, v3
.LBB1_1:                                ; =>This Inner Loop Header: Depth=1
	s_waitcnt vmcnt(0)
	ds_bpermute_b32 v7, v3, v2
	s_add_i32 s0, s0, -1
	s_delay_alu instid0(SALU_CYCLE_1)
	s_cmp_eq_u32 s0, 0
	s_waitcnt lgkmcnt(0)
	v_add_nc_u32_e32 v2, v7, v2
	ds_bpermute_b32 v7, v4, v2
	s_waitcnt lgkmcnt(0)
	v_add_nc_u32_e32 v2, v7, v2
	ds_bpermute_b32 v7, v5, v2
	;; [unrolled: 3-line block ×3, first 2 shown]
	s_waitcnt lgkmcnt(0)
	v_add_nc_u32_e32 v2, v7, v2
	s_cbranch_scc0 .LBB1_1
; %bb.2:
	v_add_co_u32 v0, vcc_lo, s2, v0
	v_add_co_ci_u32_e32 v1, vcc_lo, s3, v1, vcc_lo
	global_store_b32 v[0:1], v2, off
	s_nop 0
	s_sendmsg sendmsg(MSG_DEALLOC_VGPRS)
	s_endpgm
	.section	.rodata,"a",@progbits
	.p2align	6, 0x0
	.amdhsa_kernel _Z18warp_reduce_kernelIiLj16ELj100EENSt9enable_ifIXsr15benchmark_utilsE35device_test_enabled_for_warp_size_vIXT0_EEEvE4typeEPKT_PS3_
		.amdhsa_group_segment_fixed_size 0
		.amdhsa_private_segment_fixed_size 0
		.amdhsa_kernarg_size 272
		.amdhsa_user_sgpr_count 15
		.amdhsa_user_sgpr_dispatch_ptr 0
		.amdhsa_user_sgpr_queue_ptr 0
		.amdhsa_user_sgpr_kernarg_segment_ptr 1
		.amdhsa_user_sgpr_dispatch_id 0
		.amdhsa_user_sgpr_private_segment_size 0
		.amdhsa_wavefront_size32 1
		.amdhsa_uses_dynamic_stack 0
		.amdhsa_enable_private_segment 0
		.amdhsa_system_sgpr_workgroup_id_x 1
		.amdhsa_system_sgpr_workgroup_id_y 0
		.amdhsa_system_sgpr_workgroup_id_z 0
		.amdhsa_system_sgpr_workgroup_info 0
		.amdhsa_system_vgpr_workitem_id 0
		.amdhsa_next_free_vgpr 8
		.amdhsa_next_free_sgpr 16
		.amdhsa_reserve_vcc 1
		.amdhsa_float_round_mode_32 0
		.amdhsa_float_round_mode_16_64 0
		.amdhsa_float_denorm_mode_32 3
		.amdhsa_float_denorm_mode_16_64 3
		.amdhsa_dx10_clamp 1
		.amdhsa_ieee_mode 1
		.amdhsa_fp16_overflow 0
		.amdhsa_workgroup_processor_mode 1
		.amdhsa_memory_ordered 1
		.amdhsa_forward_progress 0
		.amdhsa_shared_vgpr_count 0
		.amdhsa_exception_fp_ieee_invalid_op 0
		.amdhsa_exception_fp_denorm_src 0
		.amdhsa_exception_fp_ieee_div_zero 0
		.amdhsa_exception_fp_ieee_overflow 0
		.amdhsa_exception_fp_ieee_underflow 0
		.amdhsa_exception_fp_ieee_inexact 0
		.amdhsa_exception_int_div_zero 0
	.end_amdhsa_kernel
	.section	.text._Z18warp_reduce_kernelIiLj16ELj100EENSt9enable_ifIXsr15benchmark_utilsE35device_test_enabled_for_warp_size_vIXT0_EEEvE4typeEPKT_PS3_,"axG",@progbits,_Z18warp_reduce_kernelIiLj16ELj100EENSt9enable_ifIXsr15benchmark_utilsE35device_test_enabled_for_warp_size_vIXT0_EEEvE4typeEPKT_PS3_,comdat
.Lfunc_end1:
	.size	_Z18warp_reduce_kernelIiLj16ELj100EENSt9enable_ifIXsr15benchmark_utilsE35device_test_enabled_for_warp_size_vIXT0_EEEvE4typeEPKT_PS3_, .Lfunc_end1-_Z18warp_reduce_kernelIiLj16ELj100EENSt9enable_ifIXsr15benchmark_utilsE35device_test_enabled_for_warp_size_vIXT0_EEEvE4typeEPKT_PS3_
                                        ; -- End function
	.section	.AMDGPU.csdata,"",@progbits
; Kernel info:
; codeLenInByte = 312
; NumSgprs: 18
; NumVgprs: 8
; ScratchSize: 0
; MemoryBound: 0
; FloatMode: 240
; IeeeMode: 1
; LDSByteSize: 0 bytes/workgroup (compile time only)
; SGPRBlocks: 2
; VGPRBlocks: 0
; NumSGPRsForWavesPerEU: 18
; NumVGPRsForWavesPerEU: 8
; Occupancy: 16
; WaveLimiterHint : 0
; COMPUTE_PGM_RSRC2:SCRATCH_EN: 0
; COMPUTE_PGM_RSRC2:USER_SGPR: 15
; COMPUTE_PGM_RSRC2:TRAP_HANDLER: 0
; COMPUTE_PGM_RSRC2:TGID_X_EN: 1
; COMPUTE_PGM_RSRC2:TGID_Y_EN: 0
; COMPUTE_PGM_RSRC2:TGID_Z_EN: 0
; COMPUTE_PGM_RSRC2:TIDIG_COMP_CNT: 0
	.section	.text._Z18warp_reduce_kernelIiLj31ELj100EENSt9enable_ifIXsr15benchmark_utilsE35device_test_enabled_for_warp_size_vIXT0_EEEvE4typeEPKT_PS3_,"axG",@progbits,_Z18warp_reduce_kernelIiLj31ELj100EENSt9enable_ifIXsr15benchmark_utilsE35device_test_enabled_for_warp_size_vIXT0_EEEvE4typeEPKT_PS3_,comdat
	.protected	_Z18warp_reduce_kernelIiLj31ELj100EENSt9enable_ifIXsr15benchmark_utilsE35device_test_enabled_for_warp_size_vIXT0_EEEvE4typeEPKT_PS3_ ; -- Begin function _Z18warp_reduce_kernelIiLj31ELj100EENSt9enable_ifIXsr15benchmark_utilsE35device_test_enabled_for_warp_size_vIXT0_EEEvE4typeEPKT_PS3_
	.globl	_Z18warp_reduce_kernelIiLj31ELj100EENSt9enable_ifIXsr15benchmark_utilsE35device_test_enabled_for_warp_size_vIXT0_EEEvE4typeEPKT_PS3_
	.p2align	8
	.type	_Z18warp_reduce_kernelIiLj31ELj100EENSt9enable_ifIXsr15benchmark_utilsE35device_test_enabled_for_warp_size_vIXT0_EEEvE4typeEPKT_PS3_,@function
_Z18warp_reduce_kernelIiLj31ELj100EENSt9enable_ifIXsr15benchmark_utilsE35device_test_enabled_for_warp_size_vIXT0_EEEvE4typeEPKT_PS3_: ; @_Z18warp_reduce_kernelIiLj31ELj100EENSt9enable_ifIXsr15benchmark_utilsE35device_test_enabled_for_warp_size_vIXT0_EEEvE4typeEPKT_PS3_
; %bb.0:
	s_clause 0x1
	s_load_b32 s2, s[0:1], 0x1c
	s_load_b128 s[4:7], s[0:1], 0x0
	s_waitcnt lgkmcnt(0)
	s_and_b32 s0, s2, 0xffff
	s_delay_alu instid0(SALU_CYCLE_1) | instskip(SKIP_1) | instid1(VALU_DEP_1)
	v_mad_u64_u32 v[1:2], null, s15, s0, v[0:1]
	v_mov_b32_e32 v2, 0
	v_lshlrev_b64 v[0:1], 2, v[1:2]
	s_delay_alu instid0(VALU_DEP_1) | instskip(NEXT) | instid1(VALU_DEP_2)
	v_add_co_u32 v3, vcc_lo, s4, v0
	v_add_co_ci_u32_e32 v4, vcc_lo, s5, v1, vcc_lo
	s_movk_i32 s4, 0x64
	global_load_b32 v4, v[3:4], off
	v_mbcnt_lo_u32_b32 v3, -1, 0
	s_delay_alu instid0(VALU_DEP_1) | instskip(NEXT) | instid1(VALU_DEP_1)
	v_mul_hi_u32 v5, 0x8421085, v3
	v_mul_u32_u24_e32 v5, 31, v5
	s_delay_alu instid0(VALU_DEP_1) | instskip(NEXT) | instid1(VALU_DEP_1)
	v_sub_nc_u32_e32 v5, v3, v5
	v_lshlrev_b32_e32 v3, 2, v5
	v_cmp_gt_u32_e32 vcc_lo, 15, v5
	v_cmp_gt_u32_e64 s0, 8, v5
	v_cmp_gt_u32_e64 s1, 4, v5
	;; [unrolled: 1-line block ×3, first 2 shown]
	v_cmp_eq_u32_e64 s3, 0, v5
	s_branch .LBB2_2
.LBB2_1:                                ;   in Loop: Header=BB2_2 Depth=1
	s_or_b32 exec_lo, exec_lo, s5
	s_add_i32 s4, s4, -1
	s_delay_alu instid0(SALU_CYCLE_1)
	s_cmp_eq_u32 s4, 0
	; wave barrier
	s_cbranch_scc1 .LBB2_22
.LBB2_2:                                ; =>This Inner Loop Header: Depth=1
	s_waitcnt vmcnt(0)
	ds_store_b32 v3, v4
	; wave barrier
	s_and_saveexec_b32 s5, vcc_lo
	s_cbranch_execz .LBB2_4
; %bb.3:                                ;   in Loop: Header=BB2_2 Depth=1
	ds_load_2addr_b32 v[4:5], v3 offset1:16
	s_waitcnt lgkmcnt(0)
	v_add_nc_u32_e32 v4, v5, v4
.LBB2_4:                                ;   in Loop: Header=BB2_2 Depth=1
	s_or_b32 exec_lo, exec_lo, s5
	; wave barrier
	s_and_saveexec_b32 s5, vcc_lo
	s_cbranch_execz .LBB2_6
; %bb.5:                                ;   in Loop: Header=BB2_2 Depth=1
	ds_store_b32 v3, v4
.LBB2_6:                                ;   in Loop: Header=BB2_2 Depth=1
	s_or_b32 exec_lo, exec_lo, s5
	; wave barrier
	s_and_saveexec_b32 s5, s0
	s_cbranch_execz .LBB2_8
; %bb.7:                                ;   in Loop: Header=BB2_2 Depth=1
	ds_load_2addr_b32 v[4:5], v3 offset1:8
	s_waitcnt lgkmcnt(0)
	v_add_nc_u32_e32 v4, v5, v4
.LBB2_8:                                ;   in Loop: Header=BB2_2 Depth=1
	s_or_b32 exec_lo, exec_lo, s5
	; wave barrier
	s_and_saveexec_b32 s5, s0
	s_cbranch_execz .LBB2_10
; %bb.9:                                ;   in Loop: Header=BB2_2 Depth=1
	ds_store_b32 v3, v4
.LBB2_10:                               ;   in Loop: Header=BB2_2 Depth=1
	s_or_b32 exec_lo, exec_lo, s5
	; wave barrier
	s_and_saveexec_b32 s5, s1
	s_cbranch_execz .LBB2_12
; %bb.11:                               ;   in Loop: Header=BB2_2 Depth=1
	ds_load_2addr_b32 v[4:5], v3 offset1:4
	s_waitcnt lgkmcnt(0)
	v_add_nc_u32_e32 v4, v5, v4
.LBB2_12:                               ;   in Loop: Header=BB2_2 Depth=1
	s_or_b32 exec_lo, exec_lo, s5
	; wave barrier
	s_and_saveexec_b32 s5, s1
	s_cbranch_execz .LBB2_14
; %bb.13:                               ;   in Loop: Header=BB2_2 Depth=1
	ds_store_b32 v3, v4
.LBB2_14:                               ;   in Loop: Header=BB2_2 Depth=1
	s_or_b32 exec_lo, exec_lo, s5
	; wave barrier
	s_and_saveexec_b32 s5, s2
	s_cbranch_execz .LBB2_16
; %bb.15:                               ;   in Loop: Header=BB2_2 Depth=1
	ds_load_2addr_b32 v[4:5], v3 offset1:2
	s_waitcnt lgkmcnt(0)
	v_add_nc_u32_e32 v4, v5, v4
.LBB2_16:                               ;   in Loop: Header=BB2_2 Depth=1
	s_or_b32 exec_lo, exec_lo, s5
	; wave barrier
	s_and_saveexec_b32 s5, s2
	s_cbranch_execz .LBB2_18
; %bb.17:                               ;   in Loop: Header=BB2_2 Depth=1
	ds_store_b32 v3, v4
.LBB2_18:                               ;   in Loop: Header=BB2_2 Depth=1
	s_or_b32 exec_lo, exec_lo, s5
	; wave barrier
	s_and_saveexec_b32 s5, s3
	s_cbranch_execz .LBB2_20
; %bb.19:                               ;   in Loop: Header=BB2_2 Depth=1
	ds_load_b32 v4, v3
	ds_load_b32 v5, v2 offset:4
	s_waitcnt lgkmcnt(0)
	v_add_nc_u32_e32 v4, v5, v4
.LBB2_20:                               ;   in Loop: Header=BB2_2 Depth=1
	s_or_b32 exec_lo, exec_lo, s5
	; wave barrier
	s_and_saveexec_b32 s5, s3
	s_cbranch_execz .LBB2_1
; %bb.21:                               ;   in Loop: Header=BB2_2 Depth=1
	ds_store_b32 v3, v4
	s_branch .LBB2_1
.LBB2_22:
	v_add_co_u32 v0, vcc_lo, s6, v0
	v_add_co_ci_u32_e32 v1, vcc_lo, s7, v1, vcc_lo
	global_store_b32 v[0:1], v4, off
	s_nop 0
	s_sendmsg sendmsg(MSG_DEALLOC_VGPRS)
	s_endpgm
	.section	.rodata,"a",@progbits
	.p2align	6, 0x0
	.amdhsa_kernel _Z18warp_reduce_kernelIiLj31ELj100EENSt9enable_ifIXsr15benchmark_utilsE35device_test_enabled_for_warp_size_vIXT0_EEEvE4typeEPKT_PS3_
		.amdhsa_group_segment_fixed_size 124
		.amdhsa_private_segment_fixed_size 0
		.amdhsa_kernarg_size 272
		.amdhsa_user_sgpr_count 15
		.amdhsa_user_sgpr_dispatch_ptr 0
		.amdhsa_user_sgpr_queue_ptr 0
		.amdhsa_user_sgpr_kernarg_segment_ptr 1
		.amdhsa_user_sgpr_dispatch_id 0
		.amdhsa_user_sgpr_private_segment_size 0
		.amdhsa_wavefront_size32 1
		.amdhsa_uses_dynamic_stack 0
		.amdhsa_enable_private_segment 0
		.amdhsa_system_sgpr_workgroup_id_x 1
		.amdhsa_system_sgpr_workgroup_id_y 0
		.amdhsa_system_sgpr_workgroup_id_z 0
		.amdhsa_system_sgpr_workgroup_info 0
		.amdhsa_system_vgpr_workitem_id 0
		.amdhsa_next_free_vgpr 6
		.amdhsa_next_free_sgpr 16
		.amdhsa_reserve_vcc 1
		.amdhsa_float_round_mode_32 0
		.amdhsa_float_round_mode_16_64 0
		.amdhsa_float_denorm_mode_32 3
		.amdhsa_float_denorm_mode_16_64 3
		.amdhsa_dx10_clamp 1
		.amdhsa_ieee_mode 1
		.amdhsa_fp16_overflow 0
		.amdhsa_workgroup_processor_mode 1
		.amdhsa_memory_ordered 1
		.amdhsa_forward_progress 0
		.amdhsa_shared_vgpr_count 0
		.amdhsa_exception_fp_ieee_invalid_op 0
		.amdhsa_exception_fp_denorm_src 0
		.amdhsa_exception_fp_ieee_div_zero 0
		.amdhsa_exception_fp_ieee_overflow 0
		.amdhsa_exception_fp_ieee_underflow 0
		.amdhsa_exception_fp_ieee_inexact 0
		.amdhsa_exception_int_div_zero 0
	.end_amdhsa_kernel
	.section	.text._Z18warp_reduce_kernelIiLj31ELj100EENSt9enable_ifIXsr15benchmark_utilsE35device_test_enabled_for_warp_size_vIXT0_EEEvE4typeEPKT_PS3_,"axG",@progbits,_Z18warp_reduce_kernelIiLj31ELj100EENSt9enable_ifIXsr15benchmark_utilsE35device_test_enabled_for_warp_size_vIXT0_EEEvE4typeEPKT_PS3_,comdat
.Lfunc_end2:
	.size	_Z18warp_reduce_kernelIiLj31ELj100EENSt9enable_ifIXsr15benchmark_utilsE35device_test_enabled_for_warp_size_vIXT0_EEEvE4typeEPKT_PS3_, .Lfunc_end2-_Z18warp_reduce_kernelIiLj31ELj100EENSt9enable_ifIXsr15benchmark_utilsE35device_test_enabled_for_warp_size_vIXT0_EEEvE4typeEPKT_PS3_
                                        ; -- End function
	.section	.AMDGPU.csdata,"",@progbits
; Kernel info:
; codeLenInByte = 476
; NumSgprs: 18
; NumVgprs: 6
; ScratchSize: 0
; MemoryBound: 0
; FloatMode: 240
; IeeeMode: 1
; LDSByteSize: 124 bytes/workgroup (compile time only)
; SGPRBlocks: 2
; VGPRBlocks: 0
; NumSGPRsForWavesPerEU: 18
; NumVGPRsForWavesPerEU: 6
; Occupancy: 16
; WaveLimiterHint : 0
; COMPUTE_PGM_RSRC2:SCRATCH_EN: 0
; COMPUTE_PGM_RSRC2:USER_SGPR: 15
; COMPUTE_PGM_RSRC2:TRAP_HANDLER: 0
; COMPUTE_PGM_RSRC2:TGID_X_EN: 1
; COMPUTE_PGM_RSRC2:TGID_Y_EN: 0
; COMPUTE_PGM_RSRC2:TGID_Z_EN: 0
; COMPUTE_PGM_RSRC2:TIDIG_COMP_CNT: 0
	.section	.text._Z18warp_reduce_kernelIiLj32ELj100EENSt9enable_ifIXsr15benchmark_utilsE35device_test_enabled_for_warp_size_vIXT0_EEEvE4typeEPKT_PS3_,"axG",@progbits,_Z18warp_reduce_kernelIiLj32ELj100EENSt9enable_ifIXsr15benchmark_utilsE35device_test_enabled_for_warp_size_vIXT0_EEEvE4typeEPKT_PS3_,comdat
	.protected	_Z18warp_reduce_kernelIiLj32ELj100EENSt9enable_ifIXsr15benchmark_utilsE35device_test_enabled_for_warp_size_vIXT0_EEEvE4typeEPKT_PS3_ ; -- Begin function _Z18warp_reduce_kernelIiLj32ELj100EENSt9enable_ifIXsr15benchmark_utilsE35device_test_enabled_for_warp_size_vIXT0_EEEvE4typeEPKT_PS3_
	.globl	_Z18warp_reduce_kernelIiLj32ELj100EENSt9enable_ifIXsr15benchmark_utilsE35device_test_enabled_for_warp_size_vIXT0_EEEvE4typeEPKT_PS3_
	.p2align	8
	.type	_Z18warp_reduce_kernelIiLj32ELj100EENSt9enable_ifIXsr15benchmark_utilsE35device_test_enabled_for_warp_size_vIXT0_EEEvE4typeEPKT_PS3_,@function
_Z18warp_reduce_kernelIiLj32ELj100EENSt9enable_ifIXsr15benchmark_utilsE35device_test_enabled_for_warp_size_vIXT0_EEEvE4typeEPKT_PS3_: ; @_Z18warp_reduce_kernelIiLj32ELj100EENSt9enable_ifIXsr15benchmark_utilsE35device_test_enabled_for_warp_size_vIXT0_EEEvE4typeEPKT_PS3_
; %bb.0:
	s_clause 0x1
	s_load_b32 s4, s[0:1], 0x1c
	s_load_b128 s[0:3], s[0:1], 0x0
	s_waitcnt lgkmcnt(0)
	s_and_b32 s4, s4, 0xffff
	s_delay_alu instid0(SALU_CYCLE_1) | instskip(SKIP_1) | instid1(VALU_DEP_1)
	v_mad_u64_u32 v[1:2], null, s15, s4, v[0:1]
	v_mov_b32_e32 v2, 0
	v_lshlrev_b64 v[0:1], 2, v[1:2]
	s_delay_alu instid0(VALU_DEP_1) | instskip(NEXT) | instid1(VALU_DEP_2)
	v_add_co_u32 v2, vcc_lo, s0, v0
	v_add_co_ci_u32_e32 v3, vcc_lo, s1, v1, vcc_lo
	s_movk_i32 s0, 0x64
	global_load_b32 v3, v[2:3], off
	v_mov_b32_e32 v2, 0x7c
	.p2align	6
.LBB3_1:                                ; =>This Inner Loop Header: Depth=1
	s_waitcnt vmcnt(0) lgkmcnt(0)
	v_mov_b32_dpp v4, v3 quad_perm:[1,0,3,2] row_mask:0xf bank_mask:0xf
	s_add_i32 s0, s0, -1
	s_delay_alu instid0(SALU_CYCLE_1) | instskip(NEXT) | instid1(VALU_DEP_1)
	s_cmp_eq_u32 s0, 0
	v_add_nc_u32_e32 v3, v4, v3
	s_delay_alu instid0(VALU_DEP_1) | instskip(NEXT) | instid1(VALU_DEP_1)
	v_mov_b32_dpp v4, v3 quad_perm:[2,3,0,1] row_mask:0xf bank_mask:0xf
	v_add_nc_u32_e32 v3, v3, v4
	s_delay_alu instid0(VALU_DEP_1) | instskip(NEXT) | instid1(VALU_DEP_1)
	v_mov_b32_dpp v4, v3 row_ror:4 row_mask:0xf bank_mask:0xf
	v_add_nc_u32_e32 v3, v3, v4
	s_delay_alu instid0(VALU_DEP_1) | instskip(NEXT) | instid1(VALU_DEP_1)
	v_mov_b32_dpp v4, v3 row_ror:8 row_mask:0xf bank_mask:0xf
	v_add_nc_u32_e32 v3, v3, v4
	ds_swizzle_b32 v4, v3 offset:swizzle(BROADCAST,32,15)
	s_waitcnt lgkmcnt(0)
	v_add_nc_u32_e32 v3, v3, v4
	ds_bpermute_b32 v3, v2, v3
	s_cbranch_scc0 .LBB3_1
; %bb.2:
	v_add_co_u32 v0, vcc_lo, s2, v0
	v_add_co_ci_u32_e32 v1, vcc_lo, s3, v1, vcc_lo
	s_waitcnt lgkmcnt(0)
	global_store_b32 v[0:1], v3, off
	s_nop 0
	s_sendmsg sendmsg(MSG_DEALLOC_VGPRS)
	s_endpgm
	.section	.rodata,"a",@progbits
	.p2align	6, 0x0
	.amdhsa_kernel _Z18warp_reduce_kernelIiLj32ELj100EENSt9enable_ifIXsr15benchmark_utilsE35device_test_enabled_for_warp_size_vIXT0_EEEvE4typeEPKT_PS3_
		.amdhsa_group_segment_fixed_size 0
		.amdhsa_private_segment_fixed_size 0
		.amdhsa_kernarg_size 272
		.amdhsa_user_sgpr_count 15
		.amdhsa_user_sgpr_dispatch_ptr 0
		.amdhsa_user_sgpr_queue_ptr 0
		.amdhsa_user_sgpr_kernarg_segment_ptr 1
		.amdhsa_user_sgpr_dispatch_id 0
		.amdhsa_user_sgpr_private_segment_size 0
		.amdhsa_wavefront_size32 1
		.amdhsa_uses_dynamic_stack 0
		.amdhsa_enable_private_segment 0
		.amdhsa_system_sgpr_workgroup_id_x 1
		.amdhsa_system_sgpr_workgroup_id_y 0
		.amdhsa_system_sgpr_workgroup_id_z 0
		.amdhsa_system_sgpr_workgroup_info 0
		.amdhsa_system_vgpr_workitem_id 0
		.amdhsa_next_free_vgpr 5
		.amdhsa_next_free_sgpr 16
		.amdhsa_reserve_vcc 1
		.amdhsa_float_round_mode_32 0
		.amdhsa_float_round_mode_16_64 0
		.amdhsa_float_denorm_mode_32 3
		.amdhsa_float_denorm_mode_16_64 3
		.amdhsa_dx10_clamp 1
		.amdhsa_ieee_mode 1
		.amdhsa_fp16_overflow 0
		.amdhsa_workgroup_processor_mode 1
		.amdhsa_memory_ordered 1
		.amdhsa_forward_progress 0
		.amdhsa_shared_vgpr_count 0
		.amdhsa_exception_fp_ieee_invalid_op 0
		.amdhsa_exception_fp_denorm_src 0
		.amdhsa_exception_fp_ieee_div_zero 0
		.amdhsa_exception_fp_ieee_overflow 0
		.amdhsa_exception_fp_ieee_underflow 0
		.amdhsa_exception_fp_ieee_inexact 0
		.amdhsa_exception_int_div_zero 0
	.end_amdhsa_kernel
	.section	.text._Z18warp_reduce_kernelIiLj32ELj100EENSt9enable_ifIXsr15benchmark_utilsE35device_test_enabled_for_warp_size_vIXT0_EEEvE4typeEPKT_PS3_,"axG",@progbits,_Z18warp_reduce_kernelIiLj32ELj100EENSt9enable_ifIXsr15benchmark_utilsE35device_test_enabled_for_warp_size_vIXT0_EEEvE4typeEPKT_PS3_,comdat
.Lfunc_end3:
	.size	_Z18warp_reduce_kernelIiLj32ELj100EENSt9enable_ifIXsr15benchmark_utilsE35device_test_enabled_for_warp_size_vIXT0_EEEvE4typeEPKT_PS3_, .Lfunc_end3-_Z18warp_reduce_kernelIiLj32ELj100EENSt9enable_ifIXsr15benchmark_utilsE35device_test_enabled_for_warp_size_vIXT0_EEEvE4typeEPKT_PS3_
                                        ; -- End function
	.section	.AMDGPU.csdata,"",@progbits
; Kernel info:
; codeLenInByte = 232
; NumSgprs: 18
; NumVgprs: 5
; ScratchSize: 0
; MemoryBound: 0
; FloatMode: 240
; IeeeMode: 1
; LDSByteSize: 0 bytes/workgroup (compile time only)
; SGPRBlocks: 2
; VGPRBlocks: 0
; NumSGPRsForWavesPerEU: 18
; NumVGPRsForWavesPerEU: 5
; Occupancy: 16
; WaveLimiterHint : 0
; COMPUTE_PGM_RSRC2:SCRATCH_EN: 0
; COMPUTE_PGM_RSRC2:USER_SGPR: 15
; COMPUTE_PGM_RSRC2:TRAP_HANDLER: 0
; COMPUTE_PGM_RSRC2:TGID_X_EN: 1
; COMPUTE_PGM_RSRC2:TGID_Y_EN: 0
; COMPUTE_PGM_RSRC2:TGID_Z_EN: 0
; COMPUTE_PGM_RSRC2:TIDIG_COMP_CNT: 0
	.section	.text._Z18warp_reduce_kernelIiLj37ELj100EENSt9enable_ifIXntsr15benchmark_utilsE35device_test_enabled_for_warp_size_vIXT0_EEEvE4typeEPKT_PS3_,"axG",@progbits,_Z18warp_reduce_kernelIiLj37ELj100EENSt9enable_ifIXntsr15benchmark_utilsE35device_test_enabled_for_warp_size_vIXT0_EEEvE4typeEPKT_PS3_,comdat
	.protected	_Z18warp_reduce_kernelIiLj37ELj100EENSt9enable_ifIXntsr15benchmark_utilsE35device_test_enabled_for_warp_size_vIXT0_EEEvE4typeEPKT_PS3_ ; -- Begin function _Z18warp_reduce_kernelIiLj37ELj100EENSt9enable_ifIXntsr15benchmark_utilsE35device_test_enabled_for_warp_size_vIXT0_EEEvE4typeEPKT_PS3_
	.globl	_Z18warp_reduce_kernelIiLj37ELj100EENSt9enable_ifIXntsr15benchmark_utilsE35device_test_enabled_for_warp_size_vIXT0_EEEvE4typeEPKT_PS3_
	.p2align	8
	.type	_Z18warp_reduce_kernelIiLj37ELj100EENSt9enable_ifIXntsr15benchmark_utilsE35device_test_enabled_for_warp_size_vIXT0_EEEvE4typeEPKT_PS3_,@function
_Z18warp_reduce_kernelIiLj37ELj100EENSt9enable_ifIXntsr15benchmark_utilsE35device_test_enabled_for_warp_size_vIXT0_EEEvE4typeEPKT_PS3_: ; @_Z18warp_reduce_kernelIiLj37ELj100EENSt9enable_ifIXntsr15benchmark_utilsE35device_test_enabled_for_warp_size_vIXT0_EEEvE4typeEPKT_PS3_
; %bb.0:
	s_endpgm
	.section	.rodata,"a",@progbits
	.p2align	6, 0x0
	.amdhsa_kernel _Z18warp_reduce_kernelIiLj37ELj100EENSt9enable_ifIXntsr15benchmark_utilsE35device_test_enabled_for_warp_size_vIXT0_EEEvE4typeEPKT_PS3_
		.amdhsa_group_segment_fixed_size 0
		.amdhsa_private_segment_fixed_size 0
		.amdhsa_kernarg_size 16
		.amdhsa_user_sgpr_count 15
		.amdhsa_user_sgpr_dispatch_ptr 0
		.amdhsa_user_sgpr_queue_ptr 0
		.amdhsa_user_sgpr_kernarg_segment_ptr 1
		.amdhsa_user_sgpr_dispatch_id 0
		.amdhsa_user_sgpr_private_segment_size 0
		.amdhsa_wavefront_size32 1
		.amdhsa_uses_dynamic_stack 0
		.amdhsa_enable_private_segment 0
		.amdhsa_system_sgpr_workgroup_id_x 1
		.amdhsa_system_sgpr_workgroup_id_y 0
		.amdhsa_system_sgpr_workgroup_id_z 0
		.amdhsa_system_sgpr_workgroup_info 0
		.amdhsa_system_vgpr_workitem_id 0
		.amdhsa_next_free_vgpr 1
		.amdhsa_next_free_sgpr 1
		.amdhsa_reserve_vcc 0
		.amdhsa_float_round_mode_32 0
		.amdhsa_float_round_mode_16_64 0
		.amdhsa_float_denorm_mode_32 3
		.amdhsa_float_denorm_mode_16_64 3
		.amdhsa_dx10_clamp 1
		.amdhsa_ieee_mode 1
		.amdhsa_fp16_overflow 0
		.amdhsa_workgroup_processor_mode 1
		.amdhsa_memory_ordered 1
		.amdhsa_forward_progress 0
		.amdhsa_shared_vgpr_count 0
		.amdhsa_exception_fp_ieee_invalid_op 0
		.amdhsa_exception_fp_denorm_src 0
		.amdhsa_exception_fp_ieee_div_zero 0
		.amdhsa_exception_fp_ieee_overflow 0
		.amdhsa_exception_fp_ieee_underflow 0
		.amdhsa_exception_fp_ieee_inexact 0
		.amdhsa_exception_int_div_zero 0
	.end_amdhsa_kernel
	.section	.text._Z18warp_reduce_kernelIiLj37ELj100EENSt9enable_ifIXntsr15benchmark_utilsE35device_test_enabled_for_warp_size_vIXT0_EEEvE4typeEPKT_PS3_,"axG",@progbits,_Z18warp_reduce_kernelIiLj37ELj100EENSt9enable_ifIXntsr15benchmark_utilsE35device_test_enabled_for_warp_size_vIXT0_EEEvE4typeEPKT_PS3_,comdat
.Lfunc_end4:
	.size	_Z18warp_reduce_kernelIiLj37ELj100EENSt9enable_ifIXntsr15benchmark_utilsE35device_test_enabled_for_warp_size_vIXT0_EEEvE4typeEPKT_PS3_, .Lfunc_end4-_Z18warp_reduce_kernelIiLj37ELj100EENSt9enable_ifIXntsr15benchmark_utilsE35device_test_enabled_for_warp_size_vIXT0_EEEvE4typeEPKT_PS3_
                                        ; -- End function
	.section	.AMDGPU.csdata,"",@progbits
; Kernel info:
; codeLenInByte = 4
; NumSgprs: 0
; NumVgprs: 0
; ScratchSize: 0
; MemoryBound: 0
; FloatMode: 240
; IeeeMode: 1
; LDSByteSize: 0 bytes/workgroup (compile time only)
; SGPRBlocks: 0
; VGPRBlocks: 0
; NumSGPRsForWavesPerEU: 1
; NumVGPRsForWavesPerEU: 1
; Occupancy: 16
; WaveLimiterHint : 0
; COMPUTE_PGM_RSRC2:SCRATCH_EN: 0
; COMPUTE_PGM_RSRC2:USER_SGPR: 15
; COMPUTE_PGM_RSRC2:TRAP_HANDLER: 0
; COMPUTE_PGM_RSRC2:TGID_X_EN: 1
; COMPUTE_PGM_RSRC2:TGID_Y_EN: 0
; COMPUTE_PGM_RSRC2:TGID_Z_EN: 0
; COMPUTE_PGM_RSRC2:TIDIG_COMP_CNT: 0
	.section	.text._Z18warp_reduce_kernelIiLj61ELj100EENSt9enable_ifIXntsr15benchmark_utilsE35device_test_enabled_for_warp_size_vIXT0_EEEvE4typeEPKT_PS3_,"axG",@progbits,_Z18warp_reduce_kernelIiLj61ELj100EENSt9enable_ifIXntsr15benchmark_utilsE35device_test_enabled_for_warp_size_vIXT0_EEEvE4typeEPKT_PS3_,comdat
	.protected	_Z18warp_reduce_kernelIiLj61ELj100EENSt9enable_ifIXntsr15benchmark_utilsE35device_test_enabled_for_warp_size_vIXT0_EEEvE4typeEPKT_PS3_ ; -- Begin function _Z18warp_reduce_kernelIiLj61ELj100EENSt9enable_ifIXntsr15benchmark_utilsE35device_test_enabled_for_warp_size_vIXT0_EEEvE4typeEPKT_PS3_
	.globl	_Z18warp_reduce_kernelIiLj61ELj100EENSt9enable_ifIXntsr15benchmark_utilsE35device_test_enabled_for_warp_size_vIXT0_EEEvE4typeEPKT_PS3_
	.p2align	8
	.type	_Z18warp_reduce_kernelIiLj61ELj100EENSt9enable_ifIXntsr15benchmark_utilsE35device_test_enabled_for_warp_size_vIXT0_EEEvE4typeEPKT_PS3_,@function
_Z18warp_reduce_kernelIiLj61ELj100EENSt9enable_ifIXntsr15benchmark_utilsE35device_test_enabled_for_warp_size_vIXT0_EEEvE4typeEPKT_PS3_: ; @_Z18warp_reduce_kernelIiLj61ELj100EENSt9enable_ifIXntsr15benchmark_utilsE35device_test_enabled_for_warp_size_vIXT0_EEEvE4typeEPKT_PS3_
; %bb.0:
	s_endpgm
	.section	.rodata,"a",@progbits
	.p2align	6, 0x0
	.amdhsa_kernel _Z18warp_reduce_kernelIiLj61ELj100EENSt9enable_ifIXntsr15benchmark_utilsE35device_test_enabled_for_warp_size_vIXT0_EEEvE4typeEPKT_PS3_
		.amdhsa_group_segment_fixed_size 0
		.amdhsa_private_segment_fixed_size 0
		.amdhsa_kernarg_size 16
		.amdhsa_user_sgpr_count 15
		.amdhsa_user_sgpr_dispatch_ptr 0
		.amdhsa_user_sgpr_queue_ptr 0
		.amdhsa_user_sgpr_kernarg_segment_ptr 1
		.amdhsa_user_sgpr_dispatch_id 0
		.amdhsa_user_sgpr_private_segment_size 0
		.amdhsa_wavefront_size32 1
		.amdhsa_uses_dynamic_stack 0
		.amdhsa_enable_private_segment 0
		.amdhsa_system_sgpr_workgroup_id_x 1
		.amdhsa_system_sgpr_workgroup_id_y 0
		.amdhsa_system_sgpr_workgroup_id_z 0
		.amdhsa_system_sgpr_workgroup_info 0
		.amdhsa_system_vgpr_workitem_id 0
		.amdhsa_next_free_vgpr 1
		.amdhsa_next_free_sgpr 1
		.amdhsa_reserve_vcc 0
		.amdhsa_float_round_mode_32 0
		.amdhsa_float_round_mode_16_64 0
		.amdhsa_float_denorm_mode_32 3
		.amdhsa_float_denorm_mode_16_64 3
		.amdhsa_dx10_clamp 1
		.amdhsa_ieee_mode 1
		.amdhsa_fp16_overflow 0
		.amdhsa_workgroup_processor_mode 1
		.amdhsa_memory_ordered 1
		.amdhsa_forward_progress 0
		.amdhsa_shared_vgpr_count 0
		.amdhsa_exception_fp_ieee_invalid_op 0
		.amdhsa_exception_fp_denorm_src 0
		.amdhsa_exception_fp_ieee_div_zero 0
		.amdhsa_exception_fp_ieee_overflow 0
		.amdhsa_exception_fp_ieee_underflow 0
		.amdhsa_exception_fp_ieee_inexact 0
		.amdhsa_exception_int_div_zero 0
	.end_amdhsa_kernel
	.section	.text._Z18warp_reduce_kernelIiLj61ELj100EENSt9enable_ifIXntsr15benchmark_utilsE35device_test_enabled_for_warp_size_vIXT0_EEEvE4typeEPKT_PS3_,"axG",@progbits,_Z18warp_reduce_kernelIiLj61ELj100EENSt9enable_ifIXntsr15benchmark_utilsE35device_test_enabled_for_warp_size_vIXT0_EEEvE4typeEPKT_PS3_,comdat
.Lfunc_end5:
	.size	_Z18warp_reduce_kernelIiLj61ELj100EENSt9enable_ifIXntsr15benchmark_utilsE35device_test_enabled_for_warp_size_vIXT0_EEEvE4typeEPKT_PS3_, .Lfunc_end5-_Z18warp_reduce_kernelIiLj61ELj100EENSt9enable_ifIXntsr15benchmark_utilsE35device_test_enabled_for_warp_size_vIXT0_EEEvE4typeEPKT_PS3_
                                        ; -- End function
	.section	.AMDGPU.csdata,"",@progbits
; Kernel info:
; codeLenInByte = 4
; NumSgprs: 0
; NumVgprs: 0
; ScratchSize: 0
; MemoryBound: 0
; FloatMode: 240
; IeeeMode: 1
; LDSByteSize: 0 bytes/workgroup (compile time only)
; SGPRBlocks: 0
; VGPRBlocks: 0
; NumSGPRsForWavesPerEU: 1
; NumVGPRsForWavesPerEU: 1
; Occupancy: 16
; WaveLimiterHint : 0
; COMPUTE_PGM_RSRC2:SCRATCH_EN: 0
; COMPUTE_PGM_RSRC2:USER_SGPR: 15
; COMPUTE_PGM_RSRC2:TRAP_HANDLER: 0
; COMPUTE_PGM_RSRC2:TGID_X_EN: 1
; COMPUTE_PGM_RSRC2:TGID_Y_EN: 0
; COMPUTE_PGM_RSRC2:TGID_Z_EN: 0
; COMPUTE_PGM_RSRC2:TIDIG_COMP_CNT: 0
	.section	.text._Z18warp_reduce_kernelIiLj64ELj100EENSt9enable_ifIXntsr15benchmark_utilsE35device_test_enabled_for_warp_size_vIXT0_EEEvE4typeEPKT_PS3_,"axG",@progbits,_Z18warp_reduce_kernelIiLj64ELj100EENSt9enable_ifIXntsr15benchmark_utilsE35device_test_enabled_for_warp_size_vIXT0_EEEvE4typeEPKT_PS3_,comdat
	.protected	_Z18warp_reduce_kernelIiLj64ELj100EENSt9enable_ifIXntsr15benchmark_utilsE35device_test_enabled_for_warp_size_vIXT0_EEEvE4typeEPKT_PS3_ ; -- Begin function _Z18warp_reduce_kernelIiLj64ELj100EENSt9enable_ifIXntsr15benchmark_utilsE35device_test_enabled_for_warp_size_vIXT0_EEEvE4typeEPKT_PS3_
	.globl	_Z18warp_reduce_kernelIiLj64ELj100EENSt9enable_ifIXntsr15benchmark_utilsE35device_test_enabled_for_warp_size_vIXT0_EEEvE4typeEPKT_PS3_
	.p2align	8
	.type	_Z18warp_reduce_kernelIiLj64ELj100EENSt9enable_ifIXntsr15benchmark_utilsE35device_test_enabled_for_warp_size_vIXT0_EEEvE4typeEPKT_PS3_,@function
_Z18warp_reduce_kernelIiLj64ELj100EENSt9enable_ifIXntsr15benchmark_utilsE35device_test_enabled_for_warp_size_vIXT0_EEEvE4typeEPKT_PS3_: ; @_Z18warp_reduce_kernelIiLj64ELj100EENSt9enable_ifIXntsr15benchmark_utilsE35device_test_enabled_for_warp_size_vIXT0_EEEvE4typeEPKT_PS3_
; %bb.0:
	s_endpgm
	.section	.rodata,"a",@progbits
	.p2align	6, 0x0
	.amdhsa_kernel _Z18warp_reduce_kernelIiLj64ELj100EENSt9enable_ifIXntsr15benchmark_utilsE35device_test_enabled_for_warp_size_vIXT0_EEEvE4typeEPKT_PS3_
		.amdhsa_group_segment_fixed_size 0
		.amdhsa_private_segment_fixed_size 0
		.amdhsa_kernarg_size 16
		.amdhsa_user_sgpr_count 15
		.amdhsa_user_sgpr_dispatch_ptr 0
		.amdhsa_user_sgpr_queue_ptr 0
		.amdhsa_user_sgpr_kernarg_segment_ptr 1
		.amdhsa_user_sgpr_dispatch_id 0
		.amdhsa_user_sgpr_private_segment_size 0
		.amdhsa_wavefront_size32 1
		.amdhsa_uses_dynamic_stack 0
		.amdhsa_enable_private_segment 0
		.amdhsa_system_sgpr_workgroup_id_x 1
		.amdhsa_system_sgpr_workgroup_id_y 0
		.amdhsa_system_sgpr_workgroup_id_z 0
		.amdhsa_system_sgpr_workgroup_info 0
		.amdhsa_system_vgpr_workitem_id 0
		.amdhsa_next_free_vgpr 1
		.amdhsa_next_free_sgpr 1
		.amdhsa_reserve_vcc 0
		.amdhsa_float_round_mode_32 0
		.amdhsa_float_round_mode_16_64 0
		.amdhsa_float_denorm_mode_32 3
		.amdhsa_float_denorm_mode_16_64 3
		.amdhsa_dx10_clamp 1
		.amdhsa_ieee_mode 1
		.amdhsa_fp16_overflow 0
		.amdhsa_workgroup_processor_mode 1
		.amdhsa_memory_ordered 1
		.amdhsa_forward_progress 0
		.amdhsa_shared_vgpr_count 0
		.amdhsa_exception_fp_ieee_invalid_op 0
		.amdhsa_exception_fp_denorm_src 0
		.amdhsa_exception_fp_ieee_div_zero 0
		.amdhsa_exception_fp_ieee_overflow 0
		.amdhsa_exception_fp_ieee_underflow 0
		.amdhsa_exception_fp_ieee_inexact 0
		.amdhsa_exception_int_div_zero 0
	.end_amdhsa_kernel
	.section	.text._Z18warp_reduce_kernelIiLj64ELj100EENSt9enable_ifIXntsr15benchmark_utilsE35device_test_enabled_for_warp_size_vIXT0_EEEvE4typeEPKT_PS3_,"axG",@progbits,_Z18warp_reduce_kernelIiLj64ELj100EENSt9enable_ifIXntsr15benchmark_utilsE35device_test_enabled_for_warp_size_vIXT0_EEEvE4typeEPKT_PS3_,comdat
.Lfunc_end6:
	.size	_Z18warp_reduce_kernelIiLj64ELj100EENSt9enable_ifIXntsr15benchmark_utilsE35device_test_enabled_for_warp_size_vIXT0_EEEvE4typeEPKT_PS3_, .Lfunc_end6-_Z18warp_reduce_kernelIiLj64ELj100EENSt9enable_ifIXntsr15benchmark_utilsE35device_test_enabled_for_warp_size_vIXT0_EEEvE4typeEPKT_PS3_
                                        ; -- End function
	.section	.AMDGPU.csdata,"",@progbits
; Kernel info:
; codeLenInByte = 4
; NumSgprs: 0
; NumVgprs: 0
; ScratchSize: 0
; MemoryBound: 0
; FloatMode: 240
; IeeeMode: 1
; LDSByteSize: 0 bytes/workgroup (compile time only)
; SGPRBlocks: 0
; VGPRBlocks: 0
; NumSGPRsForWavesPerEU: 1
; NumVGPRsForWavesPerEU: 1
; Occupancy: 16
; WaveLimiterHint : 0
; COMPUTE_PGM_RSRC2:SCRATCH_EN: 0
; COMPUTE_PGM_RSRC2:USER_SGPR: 15
; COMPUTE_PGM_RSRC2:TRAP_HANDLER: 0
; COMPUTE_PGM_RSRC2:TGID_X_EN: 1
; COMPUTE_PGM_RSRC2:TGID_Y_EN: 0
; COMPUTE_PGM_RSRC2:TGID_Z_EN: 0
; COMPUTE_PGM_RSRC2:TIDIG_COMP_CNT: 0
	.section	.text._Z18warp_reduce_kernelIfLj15ELj100EENSt9enable_ifIXsr15benchmark_utilsE35device_test_enabled_for_warp_size_vIXT0_EEEvE4typeEPKT_PS3_,"axG",@progbits,_Z18warp_reduce_kernelIfLj15ELj100EENSt9enable_ifIXsr15benchmark_utilsE35device_test_enabled_for_warp_size_vIXT0_EEEvE4typeEPKT_PS3_,comdat
	.protected	_Z18warp_reduce_kernelIfLj15ELj100EENSt9enable_ifIXsr15benchmark_utilsE35device_test_enabled_for_warp_size_vIXT0_EEEvE4typeEPKT_PS3_ ; -- Begin function _Z18warp_reduce_kernelIfLj15ELj100EENSt9enable_ifIXsr15benchmark_utilsE35device_test_enabled_for_warp_size_vIXT0_EEEvE4typeEPKT_PS3_
	.globl	_Z18warp_reduce_kernelIfLj15ELj100EENSt9enable_ifIXsr15benchmark_utilsE35device_test_enabled_for_warp_size_vIXT0_EEEvE4typeEPKT_PS3_
	.p2align	8
	.type	_Z18warp_reduce_kernelIfLj15ELj100EENSt9enable_ifIXsr15benchmark_utilsE35device_test_enabled_for_warp_size_vIXT0_EEEvE4typeEPKT_PS3_,@function
_Z18warp_reduce_kernelIfLj15ELj100EENSt9enable_ifIXsr15benchmark_utilsE35device_test_enabled_for_warp_size_vIXT0_EEEvE4typeEPKT_PS3_: ; @_Z18warp_reduce_kernelIfLj15ELj100EENSt9enable_ifIXsr15benchmark_utilsE35device_test_enabled_for_warp_size_vIXT0_EEEvE4typeEPKT_PS3_
; %bb.0:
	s_clause 0x1
	s_load_b32 s2, s[0:1], 0x1c
	s_load_b128 s[4:7], s[0:1], 0x0
	s_movk_i32 s3, 0x64
	s_waitcnt lgkmcnt(0)
	s_and_b32 s0, s2, 0xffff
	s_delay_alu instid0(SALU_CYCLE_1) | instskip(SKIP_1) | instid1(VALU_DEP_1)
	v_mad_u64_u32 v[1:2], null, s15, s0, v[0:1]
	v_mov_b32_e32 v2, 0
	v_lshlrev_b64 v[0:1], 2, v[1:2]
	s_delay_alu instid0(VALU_DEP_1) | instskip(NEXT) | instid1(VALU_DEP_2)
	v_add_co_u32 v3, vcc_lo, s4, v0
	v_add_co_ci_u32_e32 v4, vcc_lo, s5, v1, vcc_lo
	global_load_b32 v3, v[3:4], off
	v_mbcnt_lo_u32_b32 v4, -1, 0
	s_delay_alu instid0(VALU_DEP_1) | instskip(NEXT) | instid1(VALU_DEP_1)
	v_mul_hi_u32 v5, 0x11111112, v4
	v_mul_u32_u24_e32 v5, 15, v5
	s_delay_alu instid0(VALU_DEP_1) | instskip(NEXT) | instid1(VALU_DEP_1)
	v_sub_nc_u32_e32 v5, v4, v5
	v_lshlrev_b32_e32 v4, 2, v5
	v_cmp_gt_u32_e32 vcc_lo, 7, v5
	v_cmp_gt_u32_e64 s0, 4, v5
	v_cmp_gt_u32_e64 s1, 2, v5
	v_cmp_eq_u32_e64 s2, 0, v5
	s_branch .LBB7_2
.LBB7_1:                                ;   in Loop: Header=BB7_2 Depth=1
	s_or_b32 exec_lo, exec_lo, s4
	s_add_i32 s3, s3, -1
	s_delay_alu instid0(SALU_CYCLE_1)
	s_cmp_eq_u32 s3, 0
	; wave barrier
	s_cbranch_scc1 .LBB7_18
.LBB7_2:                                ; =>This Inner Loop Header: Depth=1
	s_waitcnt vmcnt(0)
	ds_store_b32 v4, v3
	; wave barrier
	s_and_saveexec_b32 s4, vcc_lo
	s_cbranch_execz .LBB7_4
; %bb.3:                                ;   in Loop: Header=BB7_2 Depth=1
	ds_load_2addr_b32 v[5:6], v4 offset1:8
	s_waitcnt lgkmcnt(0)
	v_add_f32_e32 v3, v5, v6
.LBB7_4:                                ;   in Loop: Header=BB7_2 Depth=1
	s_or_b32 exec_lo, exec_lo, s4
	; wave barrier
	s_and_saveexec_b32 s4, vcc_lo
	s_cbranch_execz .LBB7_6
; %bb.5:                                ;   in Loop: Header=BB7_2 Depth=1
	ds_store_b32 v4, v3
.LBB7_6:                                ;   in Loop: Header=BB7_2 Depth=1
	s_or_b32 exec_lo, exec_lo, s4
	; wave barrier
	s_and_saveexec_b32 s4, s0
	s_cbranch_execz .LBB7_8
; %bb.7:                                ;   in Loop: Header=BB7_2 Depth=1
	ds_load_2addr_b32 v[5:6], v4 offset1:4
	s_waitcnt lgkmcnt(0)
	v_add_f32_e32 v3, v5, v6
.LBB7_8:                                ;   in Loop: Header=BB7_2 Depth=1
	s_or_b32 exec_lo, exec_lo, s4
	; wave barrier
	s_and_saveexec_b32 s4, s0
	s_cbranch_execz .LBB7_10
; %bb.9:                                ;   in Loop: Header=BB7_2 Depth=1
	ds_store_b32 v4, v3
.LBB7_10:                               ;   in Loop: Header=BB7_2 Depth=1
	s_or_b32 exec_lo, exec_lo, s4
	; wave barrier
	s_and_saveexec_b32 s4, s1
	s_cbranch_execz .LBB7_12
; %bb.11:                               ;   in Loop: Header=BB7_2 Depth=1
	ds_load_2addr_b32 v[5:6], v4 offset1:2
	s_waitcnt lgkmcnt(0)
	v_add_f32_e32 v3, v5, v6
.LBB7_12:                               ;   in Loop: Header=BB7_2 Depth=1
	s_or_b32 exec_lo, exec_lo, s4
	; wave barrier
	s_and_saveexec_b32 s4, s1
	s_cbranch_execz .LBB7_14
; %bb.13:                               ;   in Loop: Header=BB7_2 Depth=1
	ds_store_b32 v4, v3
.LBB7_14:                               ;   in Loop: Header=BB7_2 Depth=1
	s_or_b32 exec_lo, exec_lo, s4
	; wave barrier
	s_and_saveexec_b32 s4, s2
	s_cbranch_execz .LBB7_16
; %bb.15:                               ;   in Loop: Header=BB7_2 Depth=1
	ds_load_b32 v3, v4
	ds_load_b32 v5, v2 offset:4
	s_waitcnt lgkmcnt(0)
	v_add_f32_e32 v3, v3, v5
.LBB7_16:                               ;   in Loop: Header=BB7_2 Depth=1
	s_or_b32 exec_lo, exec_lo, s4
	; wave barrier
	s_and_saveexec_b32 s4, s2
	s_cbranch_execz .LBB7_1
; %bb.17:                               ;   in Loop: Header=BB7_2 Depth=1
	ds_store_b32 v4, v3
	s_branch .LBB7_1
.LBB7_18:
	v_add_co_u32 v0, vcc_lo, s6, v0
	v_add_co_ci_u32_e32 v1, vcc_lo, s7, v1, vcc_lo
	global_store_b32 v[0:1], v3, off
	s_nop 0
	s_sendmsg sendmsg(MSG_DEALLOC_VGPRS)
	s_endpgm
	.section	.rodata,"a",@progbits
	.p2align	6, 0x0
	.amdhsa_kernel _Z18warp_reduce_kernelIfLj15ELj100EENSt9enable_ifIXsr15benchmark_utilsE35device_test_enabled_for_warp_size_vIXT0_EEEvE4typeEPKT_PS3_
		.amdhsa_group_segment_fixed_size 60
		.amdhsa_private_segment_fixed_size 0
		.amdhsa_kernarg_size 272
		.amdhsa_user_sgpr_count 15
		.amdhsa_user_sgpr_dispatch_ptr 0
		.amdhsa_user_sgpr_queue_ptr 0
		.amdhsa_user_sgpr_kernarg_segment_ptr 1
		.amdhsa_user_sgpr_dispatch_id 0
		.amdhsa_user_sgpr_private_segment_size 0
		.amdhsa_wavefront_size32 1
		.amdhsa_uses_dynamic_stack 0
		.amdhsa_enable_private_segment 0
		.amdhsa_system_sgpr_workgroup_id_x 1
		.amdhsa_system_sgpr_workgroup_id_y 0
		.amdhsa_system_sgpr_workgroup_id_z 0
		.amdhsa_system_sgpr_workgroup_info 0
		.amdhsa_system_vgpr_workitem_id 0
		.amdhsa_next_free_vgpr 7
		.amdhsa_next_free_sgpr 16
		.amdhsa_reserve_vcc 1
		.amdhsa_float_round_mode_32 0
		.amdhsa_float_round_mode_16_64 0
		.amdhsa_float_denorm_mode_32 3
		.amdhsa_float_denorm_mode_16_64 3
		.amdhsa_dx10_clamp 1
		.amdhsa_ieee_mode 1
		.amdhsa_fp16_overflow 0
		.amdhsa_workgroup_processor_mode 1
		.amdhsa_memory_ordered 1
		.amdhsa_forward_progress 0
		.amdhsa_shared_vgpr_count 0
		.amdhsa_exception_fp_ieee_invalid_op 0
		.amdhsa_exception_fp_denorm_src 0
		.amdhsa_exception_fp_ieee_div_zero 0
		.amdhsa_exception_fp_ieee_overflow 0
		.amdhsa_exception_fp_ieee_underflow 0
		.amdhsa_exception_fp_ieee_inexact 0
		.amdhsa_exception_int_div_zero 0
	.end_amdhsa_kernel
	.section	.text._Z18warp_reduce_kernelIfLj15ELj100EENSt9enable_ifIXsr15benchmark_utilsE35device_test_enabled_for_warp_size_vIXT0_EEEvE4typeEPKT_PS3_,"axG",@progbits,_Z18warp_reduce_kernelIfLj15ELj100EENSt9enable_ifIXsr15benchmark_utilsE35device_test_enabled_for_warp_size_vIXT0_EEEvE4typeEPKT_PS3_,comdat
.Lfunc_end7:
	.size	_Z18warp_reduce_kernelIfLj15ELj100EENSt9enable_ifIXsr15benchmark_utilsE35device_test_enabled_for_warp_size_vIXT0_EEEvE4typeEPKT_PS3_, .Lfunc_end7-_Z18warp_reduce_kernelIfLj15ELj100EENSt9enable_ifIXsr15benchmark_utilsE35device_test_enabled_for_warp_size_vIXT0_EEEvE4typeEPKT_PS3_
                                        ; -- End function
	.section	.AMDGPU.csdata,"",@progbits
; Kernel info:
; codeLenInByte = 420
; NumSgprs: 18
; NumVgprs: 7
; ScratchSize: 0
; MemoryBound: 0
; FloatMode: 240
; IeeeMode: 1
; LDSByteSize: 60 bytes/workgroup (compile time only)
; SGPRBlocks: 2
; VGPRBlocks: 0
; NumSGPRsForWavesPerEU: 18
; NumVGPRsForWavesPerEU: 7
; Occupancy: 16
; WaveLimiterHint : 0
; COMPUTE_PGM_RSRC2:SCRATCH_EN: 0
; COMPUTE_PGM_RSRC2:USER_SGPR: 15
; COMPUTE_PGM_RSRC2:TRAP_HANDLER: 0
; COMPUTE_PGM_RSRC2:TGID_X_EN: 1
; COMPUTE_PGM_RSRC2:TGID_Y_EN: 0
; COMPUTE_PGM_RSRC2:TGID_Z_EN: 0
; COMPUTE_PGM_RSRC2:TIDIG_COMP_CNT: 0
	.section	.text._Z18warp_reduce_kernelIfLj16ELj100EENSt9enable_ifIXsr15benchmark_utilsE35device_test_enabled_for_warp_size_vIXT0_EEEvE4typeEPKT_PS3_,"axG",@progbits,_Z18warp_reduce_kernelIfLj16ELj100EENSt9enable_ifIXsr15benchmark_utilsE35device_test_enabled_for_warp_size_vIXT0_EEEvE4typeEPKT_PS3_,comdat
	.protected	_Z18warp_reduce_kernelIfLj16ELj100EENSt9enable_ifIXsr15benchmark_utilsE35device_test_enabled_for_warp_size_vIXT0_EEEvE4typeEPKT_PS3_ ; -- Begin function _Z18warp_reduce_kernelIfLj16ELj100EENSt9enable_ifIXsr15benchmark_utilsE35device_test_enabled_for_warp_size_vIXT0_EEEvE4typeEPKT_PS3_
	.globl	_Z18warp_reduce_kernelIfLj16ELj100EENSt9enable_ifIXsr15benchmark_utilsE35device_test_enabled_for_warp_size_vIXT0_EEEvE4typeEPKT_PS3_
	.p2align	8
	.type	_Z18warp_reduce_kernelIfLj16ELj100EENSt9enable_ifIXsr15benchmark_utilsE35device_test_enabled_for_warp_size_vIXT0_EEEvE4typeEPKT_PS3_,@function
_Z18warp_reduce_kernelIfLj16ELj100EENSt9enable_ifIXsr15benchmark_utilsE35device_test_enabled_for_warp_size_vIXT0_EEEvE4typeEPKT_PS3_: ; @_Z18warp_reduce_kernelIfLj16ELj100EENSt9enable_ifIXsr15benchmark_utilsE35device_test_enabled_for_warp_size_vIXT0_EEEvE4typeEPKT_PS3_
; %bb.0:
	s_clause 0x1
	s_load_b32 s4, s[0:1], 0x1c
	s_load_b128 s[0:3], s[0:1], 0x0
	v_mbcnt_lo_u32_b32 v6, -1, 0
	s_waitcnt lgkmcnt(0)
	s_and_b32 s4, s4, 0xffff
	s_delay_alu instid0(SALU_CYCLE_1) | instskip(SKIP_1) | instid1(VALU_DEP_1)
	v_mad_u64_u32 v[1:2], null, s15, s4, v[0:1]
	v_mov_b32_e32 v2, 0
	v_lshlrev_b64 v[0:1], 2, v[1:2]
	s_delay_alu instid0(VALU_DEP_1) | instskip(NEXT) | instid1(VALU_DEP_2)
	v_add_co_u32 v2, vcc_lo, s0, v0
	v_add_co_ci_u32_e32 v3, vcc_lo, s1, v1, vcc_lo
	s_movk_i32 s0, 0x64
	global_load_b32 v2, v[2:3], off
	v_and_b32_e32 v3, 15, v6
	s_delay_alu instid0(VALU_DEP_1) | instskip(SKIP_2) | instid1(VALU_DEP_2)
	v_cmp_gt_u32_e32 vcc_lo, 14, v3
	v_cndmask_b32_e64 v4, 0, 1, vcc_lo
	v_cmp_gt_u32_e32 vcc_lo, 12, v3
	v_lshlrev_b32_e32 v4, 1, v4
	v_cndmask_b32_e64 v5, 0, 1, vcc_lo
	v_cmp_gt_u32_e32 vcc_lo, 8, v3
	s_delay_alu instid0(VALU_DEP_3) | instskip(NEXT) | instid1(VALU_DEP_3)
	v_add_lshl_u32 v4, v4, v6, 2
	v_lshlrev_b32_e32 v5, 2, v5
	v_cndmask_b32_e64 v7, 0, 1, vcc_lo
	v_cmp_ne_u32_e32 vcc_lo, 15, v3
	s_delay_alu instid0(VALU_DEP_3) | instskip(NEXT) | instid1(VALU_DEP_3)
	v_add_lshl_u32 v5, v5, v6, 2
	v_lshlrev_b32_e32 v7, 3, v7
	v_add_co_ci_u32_e32 v3, vcc_lo, 0, v6, vcc_lo
	s_delay_alu instid0(VALU_DEP_2) | instskip(NEXT) | instid1(VALU_DEP_2)
	v_add_lshl_u32 v6, v7, v6, 2
	v_lshlrev_b32_e32 v3, 2, v3
.LBB8_1:                                ; =>This Inner Loop Header: Depth=1
	s_waitcnt vmcnt(0)
	ds_bpermute_b32 v7, v3, v2
	s_add_i32 s0, s0, -1
	s_delay_alu instid0(SALU_CYCLE_1)
	s_cmp_eq_u32 s0, 0
	s_waitcnt lgkmcnt(0)
	v_add_f32_e32 v2, v2, v7
	ds_bpermute_b32 v7, v4, v2
	s_waitcnt lgkmcnt(0)
	v_add_f32_e32 v2, v2, v7
	ds_bpermute_b32 v7, v5, v2
	s_waitcnt lgkmcnt(0)
	v_add_f32_e32 v2, v2, v7
	ds_bpermute_b32 v7, v6, v2
	s_waitcnt lgkmcnt(0)
	v_add_f32_e32 v2, v2, v7
	s_cbranch_scc0 .LBB8_1
; %bb.2:
	v_add_co_u32 v0, vcc_lo, s2, v0
	v_add_co_ci_u32_e32 v1, vcc_lo, s3, v1, vcc_lo
	global_store_b32 v[0:1], v2, off
	s_nop 0
	s_sendmsg sendmsg(MSG_DEALLOC_VGPRS)
	s_endpgm
	.section	.rodata,"a",@progbits
	.p2align	6, 0x0
	.amdhsa_kernel _Z18warp_reduce_kernelIfLj16ELj100EENSt9enable_ifIXsr15benchmark_utilsE35device_test_enabled_for_warp_size_vIXT0_EEEvE4typeEPKT_PS3_
		.amdhsa_group_segment_fixed_size 0
		.amdhsa_private_segment_fixed_size 0
		.amdhsa_kernarg_size 272
		.amdhsa_user_sgpr_count 15
		.amdhsa_user_sgpr_dispatch_ptr 0
		.amdhsa_user_sgpr_queue_ptr 0
		.amdhsa_user_sgpr_kernarg_segment_ptr 1
		.amdhsa_user_sgpr_dispatch_id 0
		.amdhsa_user_sgpr_private_segment_size 0
		.amdhsa_wavefront_size32 1
		.amdhsa_uses_dynamic_stack 0
		.amdhsa_enable_private_segment 0
		.amdhsa_system_sgpr_workgroup_id_x 1
		.amdhsa_system_sgpr_workgroup_id_y 0
		.amdhsa_system_sgpr_workgroup_id_z 0
		.amdhsa_system_sgpr_workgroup_info 0
		.amdhsa_system_vgpr_workitem_id 0
		.amdhsa_next_free_vgpr 8
		.amdhsa_next_free_sgpr 16
		.amdhsa_reserve_vcc 1
		.amdhsa_float_round_mode_32 0
		.amdhsa_float_round_mode_16_64 0
		.amdhsa_float_denorm_mode_32 3
		.amdhsa_float_denorm_mode_16_64 3
		.amdhsa_dx10_clamp 1
		.amdhsa_ieee_mode 1
		.amdhsa_fp16_overflow 0
		.amdhsa_workgroup_processor_mode 1
		.amdhsa_memory_ordered 1
		.amdhsa_forward_progress 0
		.amdhsa_shared_vgpr_count 0
		.amdhsa_exception_fp_ieee_invalid_op 0
		.amdhsa_exception_fp_denorm_src 0
		.amdhsa_exception_fp_ieee_div_zero 0
		.amdhsa_exception_fp_ieee_overflow 0
		.amdhsa_exception_fp_ieee_underflow 0
		.amdhsa_exception_fp_ieee_inexact 0
		.amdhsa_exception_int_div_zero 0
	.end_amdhsa_kernel
	.section	.text._Z18warp_reduce_kernelIfLj16ELj100EENSt9enable_ifIXsr15benchmark_utilsE35device_test_enabled_for_warp_size_vIXT0_EEEvE4typeEPKT_PS3_,"axG",@progbits,_Z18warp_reduce_kernelIfLj16ELj100EENSt9enable_ifIXsr15benchmark_utilsE35device_test_enabled_for_warp_size_vIXT0_EEEvE4typeEPKT_PS3_,comdat
.Lfunc_end8:
	.size	_Z18warp_reduce_kernelIfLj16ELj100EENSt9enable_ifIXsr15benchmark_utilsE35device_test_enabled_for_warp_size_vIXT0_EEEvE4typeEPKT_PS3_, .Lfunc_end8-_Z18warp_reduce_kernelIfLj16ELj100EENSt9enable_ifIXsr15benchmark_utilsE35device_test_enabled_for_warp_size_vIXT0_EEEvE4typeEPKT_PS3_
                                        ; -- End function
	.section	.AMDGPU.csdata,"",@progbits
; Kernel info:
; codeLenInByte = 312
; NumSgprs: 18
; NumVgprs: 8
; ScratchSize: 0
; MemoryBound: 0
; FloatMode: 240
; IeeeMode: 1
; LDSByteSize: 0 bytes/workgroup (compile time only)
; SGPRBlocks: 2
; VGPRBlocks: 0
; NumSGPRsForWavesPerEU: 18
; NumVGPRsForWavesPerEU: 8
; Occupancy: 16
; WaveLimiterHint : 0
; COMPUTE_PGM_RSRC2:SCRATCH_EN: 0
; COMPUTE_PGM_RSRC2:USER_SGPR: 15
; COMPUTE_PGM_RSRC2:TRAP_HANDLER: 0
; COMPUTE_PGM_RSRC2:TGID_X_EN: 1
; COMPUTE_PGM_RSRC2:TGID_Y_EN: 0
; COMPUTE_PGM_RSRC2:TGID_Z_EN: 0
; COMPUTE_PGM_RSRC2:TIDIG_COMP_CNT: 0
	.section	.text._Z18warp_reduce_kernelIfLj31ELj100EENSt9enable_ifIXsr15benchmark_utilsE35device_test_enabled_for_warp_size_vIXT0_EEEvE4typeEPKT_PS3_,"axG",@progbits,_Z18warp_reduce_kernelIfLj31ELj100EENSt9enable_ifIXsr15benchmark_utilsE35device_test_enabled_for_warp_size_vIXT0_EEEvE4typeEPKT_PS3_,comdat
	.protected	_Z18warp_reduce_kernelIfLj31ELj100EENSt9enable_ifIXsr15benchmark_utilsE35device_test_enabled_for_warp_size_vIXT0_EEEvE4typeEPKT_PS3_ ; -- Begin function _Z18warp_reduce_kernelIfLj31ELj100EENSt9enable_ifIXsr15benchmark_utilsE35device_test_enabled_for_warp_size_vIXT0_EEEvE4typeEPKT_PS3_
	.globl	_Z18warp_reduce_kernelIfLj31ELj100EENSt9enable_ifIXsr15benchmark_utilsE35device_test_enabled_for_warp_size_vIXT0_EEEvE4typeEPKT_PS3_
	.p2align	8
	.type	_Z18warp_reduce_kernelIfLj31ELj100EENSt9enable_ifIXsr15benchmark_utilsE35device_test_enabled_for_warp_size_vIXT0_EEEvE4typeEPKT_PS3_,@function
_Z18warp_reduce_kernelIfLj31ELj100EENSt9enable_ifIXsr15benchmark_utilsE35device_test_enabled_for_warp_size_vIXT0_EEEvE4typeEPKT_PS3_: ; @_Z18warp_reduce_kernelIfLj31ELj100EENSt9enable_ifIXsr15benchmark_utilsE35device_test_enabled_for_warp_size_vIXT0_EEEvE4typeEPKT_PS3_
; %bb.0:
	s_clause 0x1
	s_load_b32 s2, s[0:1], 0x1c
	s_load_b128 s[4:7], s[0:1], 0x0
	s_waitcnt lgkmcnt(0)
	s_and_b32 s0, s2, 0xffff
	s_delay_alu instid0(SALU_CYCLE_1) | instskip(SKIP_1) | instid1(VALU_DEP_1)
	v_mad_u64_u32 v[1:2], null, s15, s0, v[0:1]
	v_mov_b32_e32 v2, 0
	v_lshlrev_b64 v[0:1], 2, v[1:2]
	s_delay_alu instid0(VALU_DEP_1) | instskip(NEXT) | instid1(VALU_DEP_2)
	v_add_co_u32 v3, vcc_lo, s4, v0
	v_add_co_ci_u32_e32 v4, vcc_lo, s5, v1, vcc_lo
	s_movk_i32 s4, 0x64
	global_load_b32 v4, v[3:4], off
	v_mbcnt_lo_u32_b32 v3, -1, 0
	s_delay_alu instid0(VALU_DEP_1) | instskip(NEXT) | instid1(VALU_DEP_1)
	v_mul_hi_u32 v5, 0x8421085, v3
	v_mul_u32_u24_e32 v5, 31, v5
	s_delay_alu instid0(VALU_DEP_1) | instskip(NEXT) | instid1(VALU_DEP_1)
	v_sub_nc_u32_e32 v5, v3, v5
	v_lshlrev_b32_e32 v3, 2, v5
	v_cmp_gt_u32_e32 vcc_lo, 15, v5
	v_cmp_gt_u32_e64 s0, 8, v5
	v_cmp_gt_u32_e64 s1, 4, v5
	;; [unrolled: 1-line block ×3, first 2 shown]
	v_cmp_eq_u32_e64 s3, 0, v5
	s_branch .LBB9_2
.LBB9_1:                                ;   in Loop: Header=BB9_2 Depth=1
	s_or_b32 exec_lo, exec_lo, s5
	s_add_i32 s4, s4, -1
	s_delay_alu instid0(SALU_CYCLE_1)
	s_cmp_eq_u32 s4, 0
	; wave barrier
	s_cbranch_scc1 .LBB9_22
.LBB9_2:                                ; =>This Inner Loop Header: Depth=1
	s_waitcnt vmcnt(0)
	ds_store_b32 v3, v4
	; wave barrier
	s_and_saveexec_b32 s5, vcc_lo
	s_cbranch_execz .LBB9_4
; %bb.3:                                ;   in Loop: Header=BB9_2 Depth=1
	ds_load_2addr_b32 v[4:5], v3 offset1:16
	s_waitcnt lgkmcnt(0)
	v_add_f32_e32 v4, v4, v5
.LBB9_4:                                ;   in Loop: Header=BB9_2 Depth=1
	s_or_b32 exec_lo, exec_lo, s5
	; wave barrier
	s_and_saveexec_b32 s5, vcc_lo
	s_cbranch_execz .LBB9_6
; %bb.5:                                ;   in Loop: Header=BB9_2 Depth=1
	ds_store_b32 v3, v4
.LBB9_6:                                ;   in Loop: Header=BB9_2 Depth=1
	s_or_b32 exec_lo, exec_lo, s5
	; wave barrier
	s_and_saveexec_b32 s5, s0
	s_cbranch_execz .LBB9_8
; %bb.7:                                ;   in Loop: Header=BB9_2 Depth=1
	ds_load_2addr_b32 v[4:5], v3 offset1:8
	s_waitcnt lgkmcnt(0)
	v_add_f32_e32 v4, v4, v5
.LBB9_8:                                ;   in Loop: Header=BB9_2 Depth=1
	s_or_b32 exec_lo, exec_lo, s5
	; wave barrier
	s_and_saveexec_b32 s5, s0
	s_cbranch_execz .LBB9_10
; %bb.9:                                ;   in Loop: Header=BB9_2 Depth=1
	ds_store_b32 v3, v4
.LBB9_10:                               ;   in Loop: Header=BB9_2 Depth=1
	s_or_b32 exec_lo, exec_lo, s5
	; wave barrier
	s_and_saveexec_b32 s5, s1
	s_cbranch_execz .LBB9_12
; %bb.11:                               ;   in Loop: Header=BB9_2 Depth=1
	ds_load_2addr_b32 v[4:5], v3 offset1:4
	s_waitcnt lgkmcnt(0)
	v_add_f32_e32 v4, v4, v5
.LBB9_12:                               ;   in Loop: Header=BB9_2 Depth=1
	s_or_b32 exec_lo, exec_lo, s5
	; wave barrier
	s_and_saveexec_b32 s5, s1
	s_cbranch_execz .LBB9_14
; %bb.13:                               ;   in Loop: Header=BB9_2 Depth=1
	ds_store_b32 v3, v4
.LBB9_14:                               ;   in Loop: Header=BB9_2 Depth=1
	s_or_b32 exec_lo, exec_lo, s5
	; wave barrier
	s_and_saveexec_b32 s5, s2
	s_cbranch_execz .LBB9_16
; %bb.15:                               ;   in Loop: Header=BB9_2 Depth=1
	ds_load_2addr_b32 v[4:5], v3 offset1:2
	s_waitcnt lgkmcnt(0)
	v_add_f32_e32 v4, v4, v5
.LBB9_16:                               ;   in Loop: Header=BB9_2 Depth=1
	s_or_b32 exec_lo, exec_lo, s5
	; wave barrier
	s_and_saveexec_b32 s5, s2
	s_cbranch_execz .LBB9_18
; %bb.17:                               ;   in Loop: Header=BB9_2 Depth=1
	ds_store_b32 v3, v4
.LBB9_18:                               ;   in Loop: Header=BB9_2 Depth=1
	s_or_b32 exec_lo, exec_lo, s5
	; wave barrier
	s_and_saveexec_b32 s5, s3
	s_cbranch_execz .LBB9_20
; %bb.19:                               ;   in Loop: Header=BB9_2 Depth=1
	ds_load_b32 v4, v3
	ds_load_b32 v5, v2 offset:4
	s_waitcnt lgkmcnt(0)
	v_add_f32_e32 v4, v4, v5
.LBB9_20:                               ;   in Loop: Header=BB9_2 Depth=1
	s_or_b32 exec_lo, exec_lo, s5
	; wave barrier
	s_and_saveexec_b32 s5, s3
	s_cbranch_execz .LBB9_1
; %bb.21:                               ;   in Loop: Header=BB9_2 Depth=1
	ds_store_b32 v3, v4
	s_branch .LBB9_1
.LBB9_22:
	v_add_co_u32 v0, vcc_lo, s6, v0
	v_add_co_ci_u32_e32 v1, vcc_lo, s7, v1, vcc_lo
	global_store_b32 v[0:1], v4, off
	s_nop 0
	s_sendmsg sendmsg(MSG_DEALLOC_VGPRS)
	s_endpgm
	.section	.rodata,"a",@progbits
	.p2align	6, 0x0
	.amdhsa_kernel _Z18warp_reduce_kernelIfLj31ELj100EENSt9enable_ifIXsr15benchmark_utilsE35device_test_enabled_for_warp_size_vIXT0_EEEvE4typeEPKT_PS3_
		.amdhsa_group_segment_fixed_size 124
		.amdhsa_private_segment_fixed_size 0
		.amdhsa_kernarg_size 272
		.amdhsa_user_sgpr_count 15
		.amdhsa_user_sgpr_dispatch_ptr 0
		.amdhsa_user_sgpr_queue_ptr 0
		.amdhsa_user_sgpr_kernarg_segment_ptr 1
		.amdhsa_user_sgpr_dispatch_id 0
		.amdhsa_user_sgpr_private_segment_size 0
		.amdhsa_wavefront_size32 1
		.amdhsa_uses_dynamic_stack 0
		.amdhsa_enable_private_segment 0
		.amdhsa_system_sgpr_workgroup_id_x 1
		.amdhsa_system_sgpr_workgroup_id_y 0
		.amdhsa_system_sgpr_workgroup_id_z 0
		.amdhsa_system_sgpr_workgroup_info 0
		.amdhsa_system_vgpr_workitem_id 0
		.amdhsa_next_free_vgpr 6
		.amdhsa_next_free_sgpr 16
		.amdhsa_reserve_vcc 1
		.amdhsa_float_round_mode_32 0
		.amdhsa_float_round_mode_16_64 0
		.amdhsa_float_denorm_mode_32 3
		.amdhsa_float_denorm_mode_16_64 3
		.amdhsa_dx10_clamp 1
		.amdhsa_ieee_mode 1
		.amdhsa_fp16_overflow 0
		.amdhsa_workgroup_processor_mode 1
		.amdhsa_memory_ordered 1
		.amdhsa_forward_progress 0
		.amdhsa_shared_vgpr_count 0
		.amdhsa_exception_fp_ieee_invalid_op 0
		.amdhsa_exception_fp_denorm_src 0
		.amdhsa_exception_fp_ieee_div_zero 0
		.amdhsa_exception_fp_ieee_overflow 0
		.amdhsa_exception_fp_ieee_underflow 0
		.amdhsa_exception_fp_ieee_inexact 0
		.amdhsa_exception_int_div_zero 0
	.end_amdhsa_kernel
	.section	.text._Z18warp_reduce_kernelIfLj31ELj100EENSt9enable_ifIXsr15benchmark_utilsE35device_test_enabled_for_warp_size_vIXT0_EEEvE4typeEPKT_PS3_,"axG",@progbits,_Z18warp_reduce_kernelIfLj31ELj100EENSt9enable_ifIXsr15benchmark_utilsE35device_test_enabled_for_warp_size_vIXT0_EEEvE4typeEPKT_PS3_,comdat
.Lfunc_end9:
	.size	_Z18warp_reduce_kernelIfLj31ELj100EENSt9enable_ifIXsr15benchmark_utilsE35device_test_enabled_for_warp_size_vIXT0_EEEvE4typeEPKT_PS3_, .Lfunc_end9-_Z18warp_reduce_kernelIfLj31ELj100EENSt9enable_ifIXsr15benchmark_utilsE35device_test_enabled_for_warp_size_vIXT0_EEEvE4typeEPKT_PS3_
                                        ; -- End function
	.section	.AMDGPU.csdata,"",@progbits
; Kernel info:
; codeLenInByte = 476
; NumSgprs: 18
; NumVgprs: 6
; ScratchSize: 0
; MemoryBound: 0
; FloatMode: 240
; IeeeMode: 1
; LDSByteSize: 124 bytes/workgroup (compile time only)
; SGPRBlocks: 2
; VGPRBlocks: 0
; NumSGPRsForWavesPerEU: 18
; NumVGPRsForWavesPerEU: 6
; Occupancy: 16
; WaveLimiterHint : 0
; COMPUTE_PGM_RSRC2:SCRATCH_EN: 0
; COMPUTE_PGM_RSRC2:USER_SGPR: 15
; COMPUTE_PGM_RSRC2:TRAP_HANDLER: 0
; COMPUTE_PGM_RSRC2:TGID_X_EN: 1
; COMPUTE_PGM_RSRC2:TGID_Y_EN: 0
; COMPUTE_PGM_RSRC2:TGID_Z_EN: 0
; COMPUTE_PGM_RSRC2:TIDIG_COMP_CNT: 0
	.section	.text._Z18warp_reduce_kernelIfLj32ELj100EENSt9enable_ifIXsr15benchmark_utilsE35device_test_enabled_for_warp_size_vIXT0_EEEvE4typeEPKT_PS3_,"axG",@progbits,_Z18warp_reduce_kernelIfLj32ELj100EENSt9enable_ifIXsr15benchmark_utilsE35device_test_enabled_for_warp_size_vIXT0_EEEvE4typeEPKT_PS3_,comdat
	.protected	_Z18warp_reduce_kernelIfLj32ELj100EENSt9enable_ifIXsr15benchmark_utilsE35device_test_enabled_for_warp_size_vIXT0_EEEvE4typeEPKT_PS3_ ; -- Begin function _Z18warp_reduce_kernelIfLj32ELj100EENSt9enable_ifIXsr15benchmark_utilsE35device_test_enabled_for_warp_size_vIXT0_EEEvE4typeEPKT_PS3_
	.globl	_Z18warp_reduce_kernelIfLj32ELj100EENSt9enable_ifIXsr15benchmark_utilsE35device_test_enabled_for_warp_size_vIXT0_EEEvE4typeEPKT_PS3_
	.p2align	8
	.type	_Z18warp_reduce_kernelIfLj32ELj100EENSt9enable_ifIXsr15benchmark_utilsE35device_test_enabled_for_warp_size_vIXT0_EEEvE4typeEPKT_PS3_,@function
_Z18warp_reduce_kernelIfLj32ELj100EENSt9enable_ifIXsr15benchmark_utilsE35device_test_enabled_for_warp_size_vIXT0_EEEvE4typeEPKT_PS3_: ; @_Z18warp_reduce_kernelIfLj32ELj100EENSt9enable_ifIXsr15benchmark_utilsE35device_test_enabled_for_warp_size_vIXT0_EEEvE4typeEPKT_PS3_
; %bb.0:
	s_clause 0x1
	s_load_b32 s4, s[0:1], 0x1c
	s_load_b128 s[0:3], s[0:1], 0x0
	s_waitcnt lgkmcnt(0)
	s_and_b32 s4, s4, 0xffff
	s_delay_alu instid0(SALU_CYCLE_1) | instskip(SKIP_1) | instid1(VALU_DEP_1)
	v_mad_u64_u32 v[1:2], null, s15, s4, v[0:1]
	v_mov_b32_e32 v2, 0
	v_lshlrev_b64 v[0:1], 2, v[1:2]
	s_delay_alu instid0(VALU_DEP_1) | instskip(NEXT) | instid1(VALU_DEP_2)
	v_add_co_u32 v2, vcc_lo, s0, v0
	v_add_co_ci_u32_e32 v3, vcc_lo, s1, v1, vcc_lo
	s_movk_i32 s0, 0x64
	global_load_b32 v3, v[2:3], off
	v_mov_b32_e32 v2, 0x7c
	.p2align	6
.LBB10_1:                               ; =>This Inner Loop Header: Depth=1
	s_waitcnt vmcnt(0) lgkmcnt(0)
	v_mov_b32_dpp v4, v3 quad_perm:[1,0,3,2] row_mask:0xf bank_mask:0xf
	s_add_i32 s0, s0, -1
	s_delay_alu instid0(SALU_CYCLE_1) | instskip(NEXT) | instid1(VALU_DEP_1)
	s_cmp_eq_u32 s0, 0
	v_add_f32_e32 v3, v3, v4
	s_delay_alu instid0(VALU_DEP_1) | instskip(NEXT) | instid1(VALU_DEP_1)
	v_mov_b32_dpp v4, v3 quad_perm:[2,3,0,1] row_mask:0xf bank_mask:0xf
	v_add_f32_e32 v3, v3, v4
	s_delay_alu instid0(VALU_DEP_1) | instskip(NEXT) | instid1(VALU_DEP_1)
	v_mov_b32_dpp v4, v3 row_ror:4 row_mask:0xf bank_mask:0xf
	v_add_f32_e32 v3, v3, v4
	s_delay_alu instid0(VALU_DEP_1) | instskip(NEXT) | instid1(VALU_DEP_1)
	v_mov_b32_dpp v4, v3 row_ror:8 row_mask:0xf bank_mask:0xf
	v_add_f32_e32 v3, v3, v4
	ds_swizzle_b32 v4, v3 offset:swizzle(BROADCAST,32,15)
	s_waitcnt lgkmcnt(0)
	v_add_f32_e32 v3, v3, v4
	ds_bpermute_b32 v3, v2, v3
	s_cbranch_scc0 .LBB10_1
; %bb.2:
	v_add_co_u32 v0, vcc_lo, s2, v0
	v_add_co_ci_u32_e32 v1, vcc_lo, s3, v1, vcc_lo
	s_waitcnt lgkmcnt(0)
	global_store_b32 v[0:1], v3, off
	s_nop 0
	s_sendmsg sendmsg(MSG_DEALLOC_VGPRS)
	s_endpgm
	.section	.rodata,"a",@progbits
	.p2align	6, 0x0
	.amdhsa_kernel _Z18warp_reduce_kernelIfLj32ELj100EENSt9enable_ifIXsr15benchmark_utilsE35device_test_enabled_for_warp_size_vIXT0_EEEvE4typeEPKT_PS3_
		.amdhsa_group_segment_fixed_size 0
		.amdhsa_private_segment_fixed_size 0
		.amdhsa_kernarg_size 272
		.amdhsa_user_sgpr_count 15
		.amdhsa_user_sgpr_dispatch_ptr 0
		.amdhsa_user_sgpr_queue_ptr 0
		.amdhsa_user_sgpr_kernarg_segment_ptr 1
		.amdhsa_user_sgpr_dispatch_id 0
		.amdhsa_user_sgpr_private_segment_size 0
		.amdhsa_wavefront_size32 1
		.amdhsa_uses_dynamic_stack 0
		.amdhsa_enable_private_segment 0
		.amdhsa_system_sgpr_workgroup_id_x 1
		.amdhsa_system_sgpr_workgroup_id_y 0
		.amdhsa_system_sgpr_workgroup_id_z 0
		.amdhsa_system_sgpr_workgroup_info 0
		.amdhsa_system_vgpr_workitem_id 0
		.amdhsa_next_free_vgpr 5
		.amdhsa_next_free_sgpr 16
		.amdhsa_reserve_vcc 1
		.amdhsa_float_round_mode_32 0
		.amdhsa_float_round_mode_16_64 0
		.amdhsa_float_denorm_mode_32 3
		.amdhsa_float_denorm_mode_16_64 3
		.amdhsa_dx10_clamp 1
		.amdhsa_ieee_mode 1
		.amdhsa_fp16_overflow 0
		.amdhsa_workgroup_processor_mode 1
		.amdhsa_memory_ordered 1
		.amdhsa_forward_progress 0
		.amdhsa_shared_vgpr_count 0
		.amdhsa_exception_fp_ieee_invalid_op 0
		.amdhsa_exception_fp_denorm_src 0
		.amdhsa_exception_fp_ieee_div_zero 0
		.amdhsa_exception_fp_ieee_overflow 0
		.amdhsa_exception_fp_ieee_underflow 0
		.amdhsa_exception_fp_ieee_inexact 0
		.amdhsa_exception_int_div_zero 0
	.end_amdhsa_kernel
	.section	.text._Z18warp_reduce_kernelIfLj32ELj100EENSt9enable_ifIXsr15benchmark_utilsE35device_test_enabled_for_warp_size_vIXT0_EEEvE4typeEPKT_PS3_,"axG",@progbits,_Z18warp_reduce_kernelIfLj32ELj100EENSt9enable_ifIXsr15benchmark_utilsE35device_test_enabled_for_warp_size_vIXT0_EEEvE4typeEPKT_PS3_,comdat
.Lfunc_end10:
	.size	_Z18warp_reduce_kernelIfLj32ELj100EENSt9enable_ifIXsr15benchmark_utilsE35device_test_enabled_for_warp_size_vIXT0_EEEvE4typeEPKT_PS3_, .Lfunc_end10-_Z18warp_reduce_kernelIfLj32ELj100EENSt9enable_ifIXsr15benchmark_utilsE35device_test_enabled_for_warp_size_vIXT0_EEEvE4typeEPKT_PS3_
                                        ; -- End function
	.section	.AMDGPU.csdata,"",@progbits
; Kernel info:
; codeLenInByte = 232
; NumSgprs: 18
; NumVgprs: 5
; ScratchSize: 0
; MemoryBound: 0
; FloatMode: 240
; IeeeMode: 1
; LDSByteSize: 0 bytes/workgroup (compile time only)
; SGPRBlocks: 2
; VGPRBlocks: 0
; NumSGPRsForWavesPerEU: 18
; NumVGPRsForWavesPerEU: 5
; Occupancy: 16
; WaveLimiterHint : 0
; COMPUTE_PGM_RSRC2:SCRATCH_EN: 0
; COMPUTE_PGM_RSRC2:USER_SGPR: 15
; COMPUTE_PGM_RSRC2:TRAP_HANDLER: 0
; COMPUTE_PGM_RSRC2:TGID_X_EN: 1
; COMPUTE_PGM_RSRC2:TGID_Y_EN: 0
; COMPUTE_PGM_RSRC2:TGID_Z_EN: 0
; COMPUTE_PGM_RSRC2:TIDIG_COMP_CNT: 0
	.section	.text._Z18warp_reduce_kernelIfLj37ELj100EENSt9enable_ifIXntsr15benchmark_utilsE35device_test_enabled_for_warp_size_vIXT0_EEEvE4typeEPKT_PS3_,"axG",@progbits,_Z18warp_reduce_kernelIfLj37ELj100EENSt9enable_ifIXntsr15benchmark_utilsE35device_test_enabled_for_warp_size_vIXT0_EEEvE4typeEPKT_PS3_,comdat
	.protected	_Z18warp_reduce_kernelIfLj37ELj100EENSt9enable_ifIXntsr15benchmark_utilsE35device_test_enabled_for_warp_size_vIXT0_EEEvE4typeEPKT_PS3_ ; -- Begin function _Z18warp_reduce_kernelIfLj37ELj100EENSt9enable_ifIXntsr15benchmark_utilsE35device_test_enabled_for_warp_size_vIXT0_EEEvE4typeEPKT_PS3_
	.globl	_Z18warp_reduce_kernelIfLj37ELj100EENSt9enable_ifIXntsr15benchmark_utilsE35device_test_enabled_for_warp_size_vIXT0_EEEvE4typeEPKT_PS3_
	.p2align	8
	.type	_Z18warp_reduce_kernelIfLj37ELj100EENSt9enable_ifIXntsr15benchmark_utilsE35device_test_enabled_for_warp_size_vIXT0_EEEvE4typeEPKT_PS3_,@function
_Z18warp_reduce_kernelIfLj37ELj100EENSt9enable_ifIXntsr15benchmark_utilsE35device_test_enabled_for_warp_size_vIXT0_EEEvE4typeEPKT_PS3_: ; @_Z18warp_reduce_kernelIfLj37ELj100EENSt9enable_ifIXntsr15benchmark_utilsE35device_test_enabled_for_warp_size_vIXT0_EEEvE4typeEPKT_PS3_
; %bb.0:
	s_endpgm
	.section	.rodata,"a",@progbits
	.p2align	6, 0x0
	.amdhsa_kernel _Z18warp_reduce_kernelIfLj37ELj100EENSt9enable_ifIXntsr15benchmark_utilsE35device_test_enabled_for_warp_size_vIXT0_EEEvE4typeEPKT_PS3_
		.amdhsa_group_segment_fixed_size 0
		.amdhsa_private_segment_fixed_size 0
		.amdhsa_kernarg_size 16
		.amdhsa_user_sgpr_count 15
		.amdhsa_user_sgpr_dispatch_ptr 0
		.amdhsa_user_sgpr_queue_ptr 0
		.amdhsa_user_sgpr_kernarg_segment_ptr 1
		.amdhsa_user_sgpr_dispatch_id 0
		.amdhsa_user_sgpr_private_segment_size 0
		.amdhsa_wavefront_size32 1
		.amdhsa_uses_dynamic_stack 0
		.amdhsa_enable_private_segment 0
		.amdhsa_system_sgpr_workgroup_id_x 1
		.amdhsa_system_sgpr_workgroup_id_y 0
		.amdhsa_system_sgpr_workgroup_id_z 0
		.amdhsa_system_sgpr_workgroup_info 0
		.amdhsa_system_vgpr_workitem_id 0
		.amdhsa_next_free_vgpr 1
		.amdhsa_next_free_sgpr 1
		.amdhsa_reserve_vcc 0
		.amdhsa_float_round_mode_32 0
		.amdhsa_float_round_mode_16_64 0
		.amdhsa_float_denorm_mode_32 3
		.amdhsa_float_denorm_mode_16_64 3
		.amdhsa_dx10_clamp 1
		.amdhsa_ieee_mode 1
		.amdhsa_fp16_overflow 0
		.amdhsa_workgroup_processor_mode 1
		.amdhsa_memory_ordered 1
		.amdhsa_forward_progress 0
		.amdhsa_shared_vgpr_count 0
		.amdhsa_exception_fp_ieee_invalid_op 0
		.amdhsa_exception_fp_denorm_src 0
		.amdhsa_exception_fp_ieee_div_zero 0
		.amdhsa_exception_fp_ieee_overflow 0
		.amdhsa_exception_fp_ieee_underflow 0
		.amdhsa_exception_fp_ieee_inexact 0
		.amdhsa_exception_int_div_zero 0
	.end_amdhsa_kernel
	.section	.text._Z18warp_reduce_kernelIfLj37ELj100EENSt9enable_ifIXntsr15benchmark_utilsE35device_test_enabled_for_warp_size_vIXT0_EEEvE4typeEPKT_PS3_,"axG",@progbits,_Z18warp_reduce_kernelIfLj37ELj100EENSt9enable_ifIXntsr15benchmark_utilsE35device_test_enabled_for_warp_size_vIXT0_EEEvE4typeEPKT_PS3_,comdat
.Lfunc_end11:
	.size	_Z18warp_reduce_kernelIfLj37ELj100EENSt9enable_ifIXntsr15benchmark_utilsE35device_test_enabled_for_warp_size_vIXT0_EEEvE4typeEPKT_PS3_, .Lfunc_end11-_Z18warp_reduce_kernelIfLj37ELj100EENSt9enable_ifIXntsr15benchmark_utilsE35device_test_enabled_for_warp_size_vIXT0_EEEvE4typeEPKT_PS3_
                                        ; -- End function
	.section	.AMDGPU.csdata,"",@progbits
; Kernel info:
; codeLenInByte = 4
; NumSgprs: 0
; NumVgprs: 0
; ScratchSize: 0
; MemoryBound: 0
; FloatMode: 240
; IeeeMode: 1
; LDSByteSize: 0 bytes/workgroup (compile time only)
; SGPRBlocks: 0
; VGPRBlocks: 0
; NumSGPRsForWavesPerEU: 1
; NumVGPRsForWavesPerEU: 1
; Occupancy: 16
; WaveLimiterHint : 0
; COMPUTE_PGM_RSRC2:SCRATCH_EN: 0
; COMPUTE_PGM_RSRC2:USER_SGPR: 15
; COMPUTE_PGM_RSRC2:TRAP_HANDLER: 0
; COMPUTE_PGM_RSRC2:TGID_X_EN: 1
; COMPUTE_PGM_RSRC2:TGID_Y_EN: 0
; COMPUTE_PGM_RSRC2:TGID_Z_EN: 0
; COMPUTE_PGM_RSRC2:TIDIG_COMP_CNT: 0
	.section	.text._Z18warp_reduce_kernelIfLj61ELj100EENSt9enable_ifIXntsr15benchmark_utilsE35device_test_enabled_for_warp_size_vIXT0_EEEvE4typeEPKT_PS3_,"axG",@progbits,_Z18warp_reduce_kernelIfLj61ELj100EENSt9enable_ifIXntsr15benchmark_utilsE35device_test_enabled_for_warp_size_vIXT0_EEEvE4typeEPKT_PS3_,comdat
	.protected	_Z18warp_reduce_kernelIfLj61ELj100EENSt9enable_ifIXntsr15benchmark_utilsE35device_test_enabled_for_warp_size_vIXT0_EEEvE4typeEPKT_PS3_ ; -- Begin function _Z18warp_reduce_kernelIfLj61ELj100EENSt9enable_ifIXntsr15benchmark_utilsE35device_test_enabled_for_warp_size_vIXT0_EEEvE4typeEPKT_PS3_
	.globl	_Z18warp_reduce_kernelIfLj61ELj100EENSt9enable_ifIXntsr15benchmark_utilsE35device_test_enabled_for_warp_size_vIXT0_EEEvE4typeEPKT_PS3_
	.p2align	8
	.type	_Z18warp_reduce_kernelIfLj61ELj100EENSt9enable_ifIXntsr15benchmark_utilsE35device_test_enabled_for_warp_size_vIXT0_EEEvE4typeEPKT_PS3_,@function
_Z18warp_reduce_kernelIfLj61ELj100EENSt9enable_ifIXntsr15benchmark_utilsE35device_test_enabled_for_warp_size_vIXT0_EEEvE4typeEPKT_PS3_: ; @_Z18warp_reduce_kernelIfLj61ELj100EENSt9enable_ifIXntsr15benchmark_utilsE35device_test_enabled_for_warp_size_vIXT0_EEEvE4typeEPKT_PS3_
; %bb.0:
	s_endpgm
	.section	.rodata,"a",@progbits
	.p2align	6, 0x0
	.amdhsa_kernel _Z18warp_reduce_kernelIfLj61ELj100EENSt9enable_ifIXntsr15benchmark_utilsE35device_test_enabled_for_warp_size_vIXT0_EEEvE4typeEPKT_PS3_
		.amdhsa_group_segment_fixed_size 0
		.amdhsa_private_segment_fixed_size 0
		.amdhsa_kernarg_size 16
		.amdhsa_user_sgpr_count 15
		.amdhsa_user_sgpr_dispatch_ptr 0
		.amdhsa_user_sgpr_queue_ptr 0
		.amdhsa_user_sgpr_kernarg_segment_ptr 1
		.amdhsa_user_sgpr_dispatch_id 0
		.amdhsa_user_sgpr_private_segment_size 0
		.amdhsa_wavefront_size32 1
		.amdhsa_uses_dynamic_stack 0
		.amdhsa_enable_private_segment 0
		.amdhsa_system_sgpr_workgroup_id_x 1
		.amdhsa_system_sgpr_workgroup_id_y 0
		.amdhsa_system_sgpr_workgroup_id_z 0
		.amdhsa_system_sgpr_workgroup_info 0
		.amdhsa_system_vgpr_workitem_id 0
		.amdhsa_next_free_vgpr 1
		.amdhsa_next_free_sgpr 1
		.amdhsa_reserve_vcc 0
		.amdhsa_float_round_mode_32 0
		.amdhsa_float_round_mode_16_64 0
		.amdhsa_float_denorm_mode_32 3
		.amdhsa_float_denorm_mode_16_64 3
		.amdhsa_dx10_clamp 1
		.amdhsa_ieee_mode 1
		.amdhsa_fp16_overflow 0
		.amdhsa_workgroup_processor_mode 1
		.amdhsa_memory_ordered 1
		.amdhsa_forward_progress 0
		.amdhsa_shared_vgpr_count 0
		.amdhsa_exception_fp_ieee_invalid_op 0
		.amdhsa_exception_fp_denorm_src 0
		.amdhsa_exception_fp_ieee_div_zero 0
		.amdhsa_exception_fp_ieee_overflow 0
		.amdhsa_exception_fp_ieee_underflow 0
		.amdhsa_exception_fp_ieee_inexact 0
		.amdhsa_exception_int_div_zero 0
	.end_amdhsa_kernel
	.section	.text._Z18warp_reduce_kernelIfLj61ELj100EENSt9enable_ifIXntsr15benchmark_utilsE35device_test_enabled_for_warp_size_vIXT0_EEEvE4typeEPKT_PS3_,"axG",@progbits,_Z18warp_reduce_kernelIfLj61ELj100EENSt9enable_ifIXntsr15benchmark_utilsE35device_test_enabled_for_warp_size_vIXT0_EEEvE4typeEPKT_PS3_,comdat
.Lfunc_end12:
	.size	_Z18warp_reduce_kernelIfLj61ELj100EENSt9enable_ifIXntsr15benchmark_utilsE35device_test_enabled_for_warp_size_vIXT0_EEEvE4typeEPKT_PS3_, .Lfunc_end12-_Z18warp_reduce_kernelIfLj61ELj100EENSt9enable_ifIXntsr15benchmark_utilsE35device_test_enabled_for_warp_size_vIXT0_EEEvE4typeEPKT_PS3_
                                        ; -- End function
	.section	.AMDGPU.csdata,"",@progbits
; Kernel info:
; codeLenInByte = 4
; NumSgprs: 0
; NumVgprs: 0
; ScratchSize: 0
; MemoryBound: 0
; FloatMode: 240
; IeeeMode: 1
; LDSByteSize: 0 bytes/workgroup (compile time only)
; SGPRBlocks: 0
; VGPRBlocks: 0
; NumSGPRsForWavesPerEU: 1
; NumVGPRsForWavesPerEU: 1
; Occupancy: 16
; WaveLimiterHint : 0
; COMPUTE_PGM_RSRC2:SCRATCH_EN: 0
; COMPUTE_PGM_RSRC2:USER_SGPR: 15
; COMPUTE_PGM_RSRC2:TRAP_HANDLER: 0
; COMPUTE_PGM_RSRC2:TGID_X_EN: 1
; COMPUTE_PGM_RSRC2:TGID_Y_EN: 0
; COMPUTE_PGM_RSRC2:TGID_Z_EN: 0
; COMPUTE_PGM_RSRC2:TIDIG_COMP_CNT: 0
	.section	.text._Z18warp_reduce_kernelIfLj64ELj100EENSt9enable_ifIXntsr15benchmark_utilsE35device_test_enabled_for_warp_size_vIXT0_EEEvE4typeEPKT_PS3_,"axG",@progbits,_Z18warp_reduce_kernelIfLj64ELj100EENSt9enable_ifIXntsr15benchmark_utilsE35device_test_enabled_for_warp_size_vIXT0_EEEvE4typeEPKT_PS3_,comdat
	.protected	_Z18warp_reduce_kernelIfLj64ELj100EENSt9enable_ifIXntsr15benchmark_utilsE35device_test_enabled_for_warp_size_vIXT0_EEEvE4typeEPKT_PS3_ ; -- Begin function _Z18warp_reduce_kernelIfLj64ELj100EENSt9enable_ifIXntsr15benchmark_utilsE35device_test_enabled_for_warp_size_vIXT0_EEEvE4typeEPKT_PS3_
	.globl	_Z18warp_reduce_kernelIfLj64ELj100EENSt9enable_ifIXntsr15benchmark_utilsE35device_test_enabled_for_warp_size_vIXT0_EEEvE4typeEPKT_PS3_
	.p2align	8
	.type	_Z18warp_reduce_kernelIfLj64ELj100EENSt9enable_ifIXntsr15benchmark_utilsE35device_test_enabled_for_warp_size_vIXT0_EEEvE4typeEPKT_PS3_,@function
_Z18warp_reduce_kernelIfLj64ELj100EENSt9enable_ifIXntsr15benchmark_utilsE35device_test_enabled_for_warp_size_vIXT0_EEEvE4typeEPKT_PS3_: ; @_Z18warp_reduce_kernelIfLj64ELj100EENSt9enable_ifIXntsr15benchmark_utilsE35device_test_enabled_for_warp_size_vIXT0_EEEvE4typeEPKT_PS3_
; %bb.0:
	s_endpgm
	.section	.rodata,"a",@progbits
	.p2align	6, 0x0
	.amdhsa_kernel _Z18warp_reduce_kernelIfLj64ELj100EENSt9enable_ifIXntsr15benchmark_utilsE35device_test_enabled_for_warp_size_vIXT0_EEEvE4typeEPKT_PS3_
		.amdhsa_group_segment_fixed_size 0
		.amdhsa_private_segment_fixed_size 0
		.amdhsa_kernarg_size 16
		.amdhsa_user_sgpr_count 15
		.amdhsa_user_sgpr_dispatch_ptr 0
		.amdhsa_user_sgpr_queue_ptr 0
		.amdhsa_user_sgpr_kernarg_segment_ptr 1
		.amdhsa_user_sgpr_dispatch_id 0
		.amdhsa_user_sgpr_private_segment_size 0
		.amdhsa_wavefront_size32 1
		.amdhsa_uses_dynamic_stack 0
		.amdhsa_enable_private_segment 0
		.amdhsa_system_sgpr_workgroup_id_x 1
		.amdhsa_system_sgpr_workgroup_id_y 0
		.amdhsa_system_sgpr_workgroup_id_z 0
		.amdhsa_system_sgpr_workgroup_info 0
		.amdhsa_system_vgpr_workitem_id 0
		.amdhsa_next_free_vgpr 1
		.amdhsa_next_free_sgpr 1
		.amdhsa_reserve_vcc 0
		.amdhsa_float_round_mode_32 0
		.amdhsa_float_round_mode_16_64 0
		.amdhsa_float_denorm_mode_32 3
		.amdhsa_float_denorm_mode_16_64 3
		.amdhsa_dx10_clamp 1
		.amdhsa_ieee_mode 1
		.amdhsa_fp16_overflow 0
		.amdhsa_workgroup_processor_mode 1
		.amdhsa_memory_ordered 1
		.amdhsa_forward_progress 0
		.amdhsa_shared_vgpr_count 0
		.amdhsa_exception_fp_ieee_invalid_op 0
		.amdhsa_exception_fp_denorm_src 0
		.amdhsa_exception_fp_ieee_div_zero 0
		.amdhsa_exception_fp_ieee_overflow 0
		.amdhsa_exception_fp_ieee_underflow 0
		.amdhsa_exception_fp_ieee_inexact 0
		.amdhsa_exception_int_div_zero 0
	.end_amdhsa_kernel
	.section	.text._Z18warp_reduce_kernelIfLj64ELj100EENSt9enable_ifIXntsr15benchmark_utilsE35device_test_enabled_for_warp_size_vIXT0_EEEvE4typeEPKT_PS3_,"axG",@progbits,_Z18warp_reduce_kernelIfLj64ELj100EENSt9enable_ifIXntsr15benchmark_utilsE35device_test_enabled_for_warp_size_vIXT0_EEEvE4typeEPKT_PS3_,comdat
.Lfunc_end13:
	.size	_Z18warp_reduce_kernelIfLj64ELj100EENSt9enable_ifIXntsr15benchmark_utilsE35device_test_enabled_for_warp_size_vIXT0_EEEvE4typeEPKT_PS3_, .Lfunc_end13-_Z18warp_reduce_kernelIfLj64ELj100EENSt9enable_ifIXntsr15benchmark_utilsE35device_test_enabled_for_warp_size_vIXT0_EEEvE4typeEPKT_PS3_
                                        ; -- End function
	.section	.AMDGPU.csdata,"",@progbits
; Kernel info:
; codeLenInByte = 4
; NumSgprs: 0
; NumVgprs: 0
; ScratchSize: 0
; MemoryBound: 0
; FloatMode: 240
; IeeeMode: 1
; LDSByteSize: 0 bytes/workgroup (compile time only)
; SGPRBlocks: 0
; VGPRBlocks: 0
; NumSGPRsForWavesPerEU: 1
; NumVGPRsForWavesPerEU: 1
; Occupancy: 16
; WaveLimiterHint : 0
; COMPUTE_PGM_RSRC2:SCRATCH_EN: 0
; COMPUTE_PGM_RSRC2:USER_SGPR: 15
; COMPUTE_PGM_RSRC2:TRAP_HANDLER: 0
; COMPUTE_PGM_RSRC2:TGID_X_EN: 1
; COMPUTE_PGM_RSRC2:TGID_Y_EN: 0
; COMPUTE_PGM_RSRC2:TGID_Z_EN: 0
; COMPUTE_PGM_RSRC2:TIDIG_COMP_CNT: 0
	.section	.text._Z18warp_reduce_kernelIdLj15ELj100EENSt9enable_ifIXsr15benchmark_utilsE35device_test_enabled_for_warp_size_vIXT0_EEEvE4typeEPKT_PS3_,"axG",@progbits,_Z18warp_reduce_kernelIdLj15ELj100EENSt9enable_ifIXsr15benchmark_utilsE35device_test_enabled_for_warp_size_vIXT0_EEEvE4typeEPKT_PS3_,comdat
	.protected	_Z18warp_reduce_kernelIdLj15ELj100EENSt9enable_ifIXsr15benchmark_utilsE35device_test_enabled_for_warp_size_vIXT0_EEEvE4typeEPKT_PS3_ ; -- Begin function _Z18warp_reduce_kernelIdLj15ELj100EENSt9enable_ifIXsr15benchmark_utilsE35device_test_enabled_for_warp_size_vIXT0_EEEvE4typeEPKT_PS3_
	.globl	_Z18warp_reduce_kernelIdLj15ELj100EENSt9enable_ifIXsr15benchmark_utilsE35device_test_enabled_for_warp_size_vIXT0_EEEvE4typeEPKT_PS3_
	.p2align	8
	.type	_Z18warp_reduce_kernelIdLj15ELj100EENSt9enable_ifIXsr15benchmark_utilsE35device_test_enabled_for_warp_size_vIXT0_EEEvE4typeEPKT_PS3_,@function
_Z18warp_reduce_kernelIdLj15ELj100EENSt9enable_ifIXsr15benchmark_utilsE35device_test_enabled_for_warp_size_vIXT0_EEEvE4typeEPKT_PS3_: ; @_Z18warp_reduce_kernelIdLj15ELj100EENSt9enable_ifIXsr15benchmark_utilsE35device_test_enabled_for_warp_size_vIXT0_EEEvE4typeEPKT_PS3_
; %bb.0:
	s_clause 0x1
	s_load_b32 s2, s[0:1], 0x1c
	s_load_b128 s[4:7], s[0:1], 0x0
	v_mbcnt_lo_u32_b32 v5, -1, 0
	s_movk_i32 s3, 0x64
	s_delay_alu instid0(VALU_DEP_1) | instskip(NEXT) | instid1(VALU_DEP_1)
	v_mul_hi_u32 v6, 0x11111112, v5
	v_mul_u32_u24_e32 v6, 15, v6
	s_delay_alu instid0(VALU_DEP_1) | instskip(SKIP_2) | instid1(SALU_CYCLE_1)
	v_sub_nc_u32_e32 v6, v5, v6
	s_waitcnt lgkmcnt(0)
	s_and_b32 s0, s2, 0xffff
	v_mad_u64_u32 v[1:2], null, s15, s0, v[0:1]
	s_delay_alu instid0(VALU_DEP_2) | instskip(SKIP_3) | instid1(VALU_DEP_4)
	v_dual_mov_b32 v2, 0 :: v_dual_lshlrev_b32 v5, 3, v6
	v_cmp_gt_u32_e64 s0, 4, v6
	v_cmp_gt_u32_e64 s1, 2, v6
	v_cmp_eq_u32_e64 s2, 0, v6
	v_lshlrev_b64 v[0:1], 3, v[1:2]
	s_delay_alu instid0(VALU_DEP_1) | instskip(NEXT) | instid1(VALU_DEP_2)
	v_add_co_u32 v3, vcc_lo, s4, v0
	v_add_co_ci_u32_e32 v4, vcc_lo, s5, v1, vcc_lo
	v_cmp_gt_u32_e32 vcc_lo, 7, v6
	global_load_b64 v[3:4], v[3:4], off
	s_branch .LBB14_2
.LBB14_1:                               ;   in Loop: Header=BB14_2 Depth=1
	s_or_b32 exec_lo, exec_lo, s4
	s_add_i32 s3, s3, -1
	s_delay_alu instid0(SALU_CYCLE_1)
	s_cmp_eq_u32 s3, 0
	; wave barrier
	s_cbranch_scc1 .LBB14_18
.LBB14_2:                               ; =>This Inner Loop Header: Depth=1
	s_waitcnt vmcnt(0)
	ds_store_b64 v5, v[3:4]
	; wave barrier
	s_and_saveexec_b32 s4, vcc_lo
	s_cbranch_execz .LBB14_4
; %bb.3:                                ;   in Loop: Header=BB14_2 Depth=1
	ds_load_2addr_b64 v[6:9], v5 offset1:8
	s_waitcnt lgkmcnt(0)
	v_add_f64 v[3:4], v[6:7], v[8:9]
.LBB14_4:                               ;   in Loop: Header=BB14_2 Depth=1
	s_or_b32 exec_lo, exec_lo, s4
	; wave barrier
	s_and_saveexec_b32 s4, vcc_lo
	s_cbranch_execz .LBB14_6
; %bb.5:                                ;   in Loop: Header=BB14_2 Depth=1
	ds_store_b64 v5, v[3:4]
.LBB14_6:                               ;   in Loop: Header=BB14_2 Depth=1
	s_or_b32 exec_lo, exec_lo, s4
	; wave barrier
	s_and_saveexec_b32 s4, s0
	s_cbranch_execz .LBB14_8
; %bb.7:                                ;   in Loop: Header=BB14_2 Depth=1
	ds_load_2addr_b64 v[6:9], v5 offset1:4
	s_waitcnt lgkmcnt(0)
	v_add_f64 v[3:4], v[6:7], v[8:9]
.LBB14_8:                               ;   in Loop: Header=BB14_2 Depth=1
	s_or_b32 exec_lo, exec_lo, s4
	; wave barrier
	s_and_saveexec_b32 s4, s0
	s_cbranch_execz .LBB14_10
; %bb.9:                                ;   in Loop: Header=BB14_2 Depth=1
	ds_store_b64 v5, v[3:4]
.LBB14_10:                              ;   in Loop: Header=BB14_2 Depth=1
	s_or_b32 exec_lo, exec_lo, s4
	; wave barrier
	s_and_saveexec_b32 s4, s1
	s_cbranch_execz .LBB14_12
; %bb.11:                               ;   in Loop: Header=BB14_2 Depth=1
	ds_load_2addr_b64 v[6:9], v5 offset1:2
	s_waitcnt lgkmcnt(0)
	v_add_f64 v[3:4], v[6:7], v[8:9]
.LBB14_12:                              ;   in Loop: Header=BB14_2 Depth=1
	s_or_b32 exec_lo, exec_lo, s4
	; wave barrier
	s_and_saveexec_b32 s4, s1
	s_cbranch_execz .LBB14_14
; %bb.13:                               ;   in Loop: Header=BB14_2 Depth=1
	ds_store_b64 v5, v[3:4]
.LBB14_14:                              ;   in Loop: Header=BB14_2 Depth=1
	s_or_b32 exec_lo, exec_lo, s4
	; wave barrier
	s_and_saveexec_b32 s4, s2
	s_cbranch_execz .LBB14_16
; %bb.15:                               ;   in Loop: Header=BB14_2 Depth=1
	ds_load_b64 v[3:4], v5
	ds_load_b64 v[6:7], v2 offset:8
	s_waitcnt lgkmcnt(0)
	v_add_f64 v[3:4], v[3:4], v[6:7]
.LBB14_16:                              ;   in Loop: Header=BB14_2 Depth=1
	s_or_b32 exec_lo, exec_lo, s4
	; wave barrier
	s_and_saveexec_b32 s4, s2
	s_cbranch_execz .LBB14_1
; %bb.17:                               ;   in Loop: Header=BB14_2 Depth=1
	ds_store_b64 v5, v[3:4]
	s_branch .LBB14_1
.LBB14_18:
	v_add_co_u32 v0, vcc_lo, s6, v0
	v_add_co_ci_u32_e32 v1, vcc_lo, s7, v1, vcc_lo
	global_store_b64 v[0:1], v[3:4], off
	s_nop 0
	s_sendmsg sendmsg(MSG_DEALLOC_VGPRS)
	s_endpgm
	.section	.rodata,"a",@progbits
	.p2align	6, 0x0
	.amdhsa_kernel _Z18warp_reduce_kernelIdLj15ELj100EENSt9enable_ifIXsr15benchmark_utilsE35device_test_enabled_for_warp_size_vIXT0_EEEvE4typeEPKT_PS3_
		.amdhsa_group_segment_fixed_size 120
		.amdhsa_private_segment_fixed_size 0
		.amdhsa_kernarg_size 272
		.amdhsa_user_sgpr_count 15
		.amdhsa_user_sgpr_dispatch_ptr 0
		.amdhsa_user_sgpr_queue_ptr 0
		.amdhsa_user_sgpr_kernarg_segment_ptr 1
		.amdhsa_user_sgpr_dispatch_id 0
		.amdhsa_user_sgpr_private_segment_size 0
		.amdhsa_wavefront_size32 1
		.amdhsa_uses_dynamic_stack 0
		.amdhsa_enable_private_segment 0
		.amdhsa_system_sgpr_workgroup_id_x 1
		.amdhsa_system_sgpr_workgroup_id_y 0
		.amdhsa_system_sgpr_workgroup_id_z 0
		.amdhsa_system_sgpr_workgroup_info 0
		.amdhsa_system_vgpr_workitem_id 0
		.amdhsa_next_free_vgpr 10
		.amdhsa_next_free_sgpr 16
		.amdhsa_reserve_vcc 1
		.amdhsa_float_round_mode_32 0
		.amdhsa_float_round_mode_16_64 0
		.amdhsa_float_denorm_mode_32 3
		.amdhsa_float_denorm_mode_16_64 3
		.amdhsa_dx10_clamp 1
		.amdhsa_ieee_mode 1
		.amdhsa_fp16_overflow 0
		.amdhsa_workgroup_processor_mode 1
		.amdhsa_memory_ordered 1
		.amdhsa_forward_progress 0
		.amdhsa_shared_vgpr_count 0
		.amdhsa_exception_fp_ieee_invalid_op 0
		.amdhsa_exception_fp_denorm_src 0
		.amdhsa_exception_fp_ieee_div_zero 0
		.amdhsa_exception_fp_ieee_overflow 0
		.amdhsa_exception_fp_ieee_underflow 0
		.amdhsa_exception_fp_ieee_inexact 0
		.amdhsa_exception_int_div_zero 0
	.end_amdhsa_kernel
	.section	.text._Z18warp_reduce_kernelIdLj15ELj100EENSt9enable_ifIXsr15benchmark_utilsE35device_test_enabled_for_warp_size_vIXT0_EEEvE4typeEPKT_PS3_,"axG",@progbits,_Z18warp_reduce_kernelIdLj15ELj100EENSt9enable_ifIXsr15benchmark_utilsE35device_test_enabled_for_warp_size_vIXT0_EEEvE4typeEPKT_PS3_,comdat
.Lfunc_end14:
	.size	_Z18warp_reduce_kernelIdLj15ELj100EENSt9enable_ifIXsr15benchmark_utilsE35device_test_enabled_for_warp_size_vIXT0_EEEvE4typeEPKT_PS3_, .Lfunc_end14-_Z18warp_reduce_kernelIdLj15ELj100EENSt9enable_ifIXsr15benchmark_utilsE35device_test_enabled_for_warp_size_vIXT0_EEEvE4typeEPKT_PS3_
                                        ; -- End function
	.section	.AMDGPU.csdata,"",@progbits
; Kernel info:
; codeLenInByte = 436
; NumSgprs: 18
; NumVgprs: 10
; ScratchSize: 0
; MemoryBound: 0
; FloatMode: 240
; IeeeMode: 1
; LDSByteSize: 120 bytes/workgroup (compile time only)
; SGPRBlocks: 2
; VGPRBlocks: 1
; NumSGPRsForWavesPerEU: 18
; NumVGPRsForWavesPerEU: 10
; Occupancy: 16
; WaveLimiterHint : 0
; COMPUTE_PGM_RSRC2:SCRATCH_EN: 0
; COMPUTE_PGM_RSRC2:USER_SGPR: 15
; COMPUTE_PGM_RSRC2:TRAP_HANDLER: 0
; COMPUTE_PGM_RSRC2:TGID_X_EN: 1
; COMPUTE_PGM_RSRC2:TGID_Y_EN: 0
; COMPUTE_PGM_RSRC2:TGID_Z_EN: 0
; COMPUTE_PGM_RSRC2:TIDIG_COMP_CNT: 0
	.section	.text._Z18warp_reduce_kernelIdLj16ELj100EENSt9enable_ifIXsr15benchmark_utilsE35device_test_enabled_for_warp_size_vIXT0_EEEvE4typeEPKT_PS3_,"axG",@progbits,_Z18warp_reduce_kernelIdLj16ELj100EENSt9enable_ifIXsr15benchmark_utilsE35device_test_enabled_for_warp_size_vIXT0_EEEvE4typeEPKT_PS3_,comdat
	.protected	_Z18warp_reduce_kernelIdLj16ELj100EENSt9enable_ifIXsr15benchmark_utilsE35device_test_enabled_for_warp_size_vIXT0_EEEvE4typeEPKT_PS3_ ; -- Begin function _Z18warp_reduce_kernelIdLj16ELj100EENSt9enable_ifIXsr15benchmark_utilsE35device_test_enabled_for_warp_size_vIXT0_EEEvE4typeEPKT_PS3_
	.globl	_Z18warp_reduce_kernelIdLj16ELj100EENSt9enable_ifIXsr15benchmark_utilsE35device_test_enabled_for_warp_size_vIXT0_EEEvE4typeEPKT_PS3_
	.p2align	8
	.type	_Z18warp_reduce_kernelIdLj16ELj100EENSt9enable_ifIXsr15benchmark_utilsE35device_test_enabled_for_warp_size_vIXT0_EEEvE4typeEPKT_PS3_,@function
_Z18warp_reduce_kernelIdLj16ELj100EENSt9enable_ifIXsr15benchmark_utilsE35device_test_enabled_for_warp_size_vIXT0_EEEvE4typeEPKT_PS3_: ; @_Z18warp_reduce_kernelIdLj16ELj100EENSt9enable_ifIXsr15benchmark_utilsE35device_test_enabled_for_warp_size_vIXT0_EEEvE4typeEPKT_PS3_
; %bb.0:
	s_clause 0x1
	s_load_b32 s4, s[0:1], 0x1c
	s_load_b128 s[0:3], s[0:1], 0x0
	v_mbcnt_lo_u32_b32 v7, -1, 0
	s_delay_alu instid0(VALU_DEP_1) | instskip(SKIP_2) | instid1(SALU_CYCLE_1)
	v_and_b32_e32 v4, 15, v7
	s_waitcnt lgkmcnt(0)
	s_and_b32 s4, s4, 0xffff
	v_mad_u64_u32 v[1:2], null, s15, s4, v[0:1]
	v_mov_b32_e32 v2, 0
	s_delay_alu instid0(VALU_DEP_1) | instskip(NEXT) | instid1(VALU_DEP_1)
	v_lshlrev_b64 v[0:1], 3, v[1:2]
	v_add_co_u32 v2, vcc_lo, s0, v0
	s_delay_alu instid0(VALU_DEP_2)
	v_add_co_ci_u32_e32 v3, vcc_lo, s1, v1, vcc_lo
	v_cmp_gt_u32_e32 vcc_lo, 14, v4
	s_movk_i32 s0, 0x64
	global_load_b64 v[2:3], v[2:3], off
	v_cndmask_b32_e64 v5, 0, 1, vcc_lo
	v_cmp_gt_u32_e32 vcc_lo, 12, v4
	s_delay_alu instid0(VALU_DEP_2) | instskip(SKIP_2) | instid1(VALU_DEP_3)
	v_lshlrev_b32_e32 v5, 1, v5
	v_cndmask_b32_e64 v6, 0, 1, vcc_lo
	v_cmp_gt_u32_e32 vcc_lo, 8, v4
	v_add_lshl_u32 v5, v5, v7, 2
	s_delay_alu instid0(VALU_DEP_3) | instskip(SKIP_2) | instid1(VALU_DEP_3)
	v_lshlrev_b32_e32 v6, 2, v6
	v_cndmask_b32_e64 v8, 0, 1, vcc_lo
	v_cmp_ne_u32_e32 vcc_lo, 15, v4
	v_add_lshl_u32 v6, v6, v7, 2
	s_delay_alu instid0(VALU_DEP_3) | instskip(SKIP_1) | instid1(VALU_DEP_2)
	v_lshlrev_b32_e32 v8, 3, v8
	v_add_co_ci_u32_e32 v4, vcc_lo, 0, v7, vcc_lo
	v_add_lshl_u32 v7, v8, v7, 2
	s_delay_alu instid0(VALU_DEP_2)
	v_lshlrev_b32_e32 v4, 2, v4
	.p2align	6
.LBB15_1:                               ; =>This Inner Loop Header: Depth=1
	s_waitcnt vmcnt(0)
	ds_bpermute_b32 v8, v4, v2
	ds_bpermute_b32 v9, v4, v3
	s_add_i32 s0, s0, -1
	s_delay_alu instid0(SALU_CYCLE_1)
	s_cmp_eq_u32 s0, 0
	s_waitcnt lgkmcnt(0)
	v_add_f64 v[2:3], v[2:3], v[8:9]
	ds_bpermute_b32 v8, v5, v2
	ds_bpermute_b32 v9, v5, v3
	s_waitcnt lgkmcnt(0)
	v_add_f64 v[2:3], v[2:3], v[8:9]
	ds_bpermute_b32 v8, v6, v2
	ds_bpermute_b32 v9, v6, v3
	s_waitcnt lgkmcnt(0)
	v_add_f64 v[2:3], v[2:3], v[8:9]
	ds_bpermute_b32 v8, v7, v2
	ds_bpermute_b32 v9, v7, v3
	s_waitcnt lgkmcnt(0)
	v_add_f64 v[2:3], v[2:3], v[8:9]
	s_cbranch_scc0 .LBB15_1
; %bb.2:
	v_add_co_u32 v0, vcc_lo, s2, v0
	v_add_co_ci_u32_e32 v1, vcc_lo, s3, v1, vcc_lo
	global_store_b64 v[0:1], v[2:3], off
	s_nop 0
	s_sendmsg sendmsg(MSG_DEALLOC_VGPRS)
	s_endpgm
	.section	.rodata,"a",@progbits
	.p2align	6, 0x0
	.amdhsa_kernel _Z18warp_reduce_kernelIdLj16ELj100EENSt9enable_ifIXsr15benchmark_utilsE35device_test_enabled_for_warp_size_vIXT0_EEEvE4typeEPKT_PS3_
		.amdhsa_group_segment_fixed_size 0
		.amdhsa_private_segment_fixed_size 0
		.amdhsa_kernarg_size 272
		.amdhsa_user_sgpr_count 15
		.amdhsa_user_sgpr_dispatch_ptr 0
		.amdhsa_user_sgpr_queue_ptr 0
		.amdhsa_user_sgpr_kernarg_segment_ptr 1
		.amdhsa_user_sgpr_dispatch_id 0
		.amdhsa_user_sgpr_private_segment_size 0
		.amdhsa_wavefront_size32 1
		.amdhsa_uses_dynamic_stack 0
		.amdhsa_enable_private_segment 0
		.amdhsa_system_sgpr_workgroup_id_x 1
		.amdhsa_system_sgpr_workgroup_id_y 0
		.amdhsa_system_sgpr_workgroup_id_z 0
		.amdhsa_system_sgpr_workgroup_info 0
		.amdhsa_system_vgpr_workitem_id 0
		.amdhsa_next_free_vgpr 10
		.amdhsa_next_free_sgpr 16
		.amdhsa_reserve_vcc 1
		.amdhsa_float_round_mode_32 0
		.amdhsa_float_round_mode_16_64 0
		.amdhsa_float_denorm_mode_32 3
		.amdhsa_float_denorm_mode_16_64 3
		.amdhsa_dx10_clamp 1
		.amdhsa_ieee_mode 1
		.amdhsa_fp16_overflow 0
		.amdhsa_workgroup_processor_mode 1
		.amdhsa_memory_ordered 1
		.amdhsa_forward_progress 0
		.amdhsa_shared_vgpr_count 0
		.amdhsa_exception_fp_ieee_invalid_op 0
		.amdhsa_exception_fp_denorm_src 0
		.amdhsa_exception_fp_ieee_div_zero 0
		.amdhsa_exception_fp_ieee_overflow 0
		.amdhsa_exception_fp_ieee_underflow 0
		.amdhsa_exception_fp_ieee_inexact 0
		.amdhsa_exception_int_div_zero 0
	.end_amdhsa_kernel
	.section	.text._Z18warp_reduce_kernelIdLj16ELj100EENSt9enable_ifIXsr15benchmark_utilsE35device_test_enabled_for_warp_size_vIXT0_EEEvE4typeEPKT_PS3_,"axG",@progbits,_Z18warp_reduce_kernelIdLj16ELj100EENSt9enable_ifIXsr15benchmark_utilsE35device_test_enabled_for_warp_size_vIXT0_EEEvE4typeEPKT_PS3_,comdat
.Lfunc_end15:
	.size	_Z18warp_reduce_kernelIdLj16ELj100EENSt9enable_ifIXsr15benchmark_utilsE35device_test_enabled_for_warp_size_vIXT0_EEEvE4typeEPKT_PS3_, .Lfunc_end15-_Z18warp_reduce_kernelIdLj16ELj100EENSt9enable_ifIXsr15benchmark_utilsE35device_test_enabled_for_warp_size_vIXT0_EEEvE4typeEPKT_PS3_
                                        ; -- End function
	.section	.AMDGPU.csdata,"",@progbits
; Kernel info:
; codeLenInByte = 364
; NumSgprs: 18
; NumVgprs: 10
; ScratchSize: 0
; MemoryBound: 0
; FloatMode: 240
; IeeeMode: 1
; LDSByteSize: 0 bytes/workgroup (compile time only)
; SGPRBlocks: 2
; VGPRBlocks: 1
; NumSGPRsForWavesPerEU: 18
; NumVGPRsForWavesPerEU: 10
; Occupancy: 16
; WaveLimiterHint : 0
; COMPUTE_PGM_RSRC2:SCRATCH_EN: 0
; COMPUTE_PGM_RSRC2:USER_SGPR: 15
; COMPUTE_PGM_RSRC2:TRAP_HANDLER: 0
; COMPUTE_PGM_RSRC2:TGID_X_EN: 1
; COMPUTE_PGM_RSRC2:TGID_Y_EN: 0
; COMPUTE_PGM_RSRC2:TGID_Z_EN: 0
; COMPUTE_PGM_RSRC2:TIDIG_COMP_CNT: 0
	.section	.text._Z18warp_reduce_kernelIdLj31ELj100EENSt9enable_ifIXsr15benchmark_utilsE35device_test_enabled_for_warp_size_vIXT0_EEEvE4typeEPKT_PS3_,"axG",@progbits,_Z18warp_reduce_kernelIdLj31ELj100EENSt9enable_ifIXsr15benchmark_utilsE35device_test_enabled_for_warp_size_vIXT0_EEEvE4typeEPKT_PS3_,comdat
	.protected	_Z18warp_reduce_kernelIdLj31ELj100EENSt9enable_ifIXsr15benchmark_utilsE35device_test_enabled_for_warp_size_vIXT0_EEEvE4typeEPKT_PS3_ ; -- Begin function _Z18warp_reduce_kernelIdLj31ELj100EENSt9enable_ifIXsr15benchmark_utilsE35device_test_enabled_for_warp_size_vIXT0_EEEvE4typeEPKT_PS3_
	.globl	_Z18warp_reduce_kernelIdLj31ELj100EENSt9enable_ifIXsr15benchmark_utilsE35device_test_enabled_for_warp_size_vIXT0_EEEvE4typeEPKT_PS3_
	.p2align	8
	.type	_Z18warp_reduce_kernelIdLj31ELj100EENSt9enable_ifIXsr15benchmark_utilsE35device_test_enabled_for_warp_size_vIXT0_EEEvE4typeEPKT_PS3_,@function
_Z18warp_reduce_kernelIdLj31ELj100EENSt9enable_ifIXsr15benchmark_utilsE35device_test_enabled_for_warp_size_vIXT0_EEEvE4typeEPKT_PS3_: ; @_Z18warp_reduce_kernelIdLj31ELj100EENSt9enable_ifIXsr15benchmark_utilsE35device_test_enabled_for_warp_size_vIXT0_EEEvE4typeEPKT_PS3_
; %bb.0:
	s_clause 0x1
	s_load_b32 s2, s[0:1], 0x1c
	s_load_b128 s[4:7], s[0:1], 0x0
	v_mbcnt_lo_u32_b32 v5, -1, 0
	s_delay_alu instid0(VALU_DEP_1) | instskip(NEXT) | instid1(VALU_DEP_1)
	v_mul_hi_u32 v6, 0x8421085, v5
	v_mul_u32_u24_e32 v6, 31, v6
	s_delay_alu instid0(VALU_DEP_1) | instskip(SKIP_2) | instid1(SALU_CYCLE_1)
	v_sub_nc_u32_e32 v6, v5, v6
	s_waitcnt lgkmcnt(0)
	s_and_b32 s0, s2, 0xffff
	v_mad_u64_u32 v[1:2], null, s15, s0, v[0:1]
	s_delay_alu instid0(VALU_DEP_2)
	v_dual_mov_b32 v2, 0 :: v_dual_lshlrev_b32 v5, 3, v6
	v_cmp_gt_u32_e64 s0, 8, v6
	v_cmp_gt_u32_e64 s1, 4, v6
	;; [unrolled: 1-line block ×3, first 2 shown]
	v_cmp_eq_u32_e64 s3, 0, v6
	v_lshlrev_b64 v[0:1], 3, v[1:2]
	s_delay_alu instid0(VALU_DEP_1) | instskip(NEXT) | instid1(VALU_DEP_2)
	v_add_co_u32 v3, vcc_lo, s4, v0
	v_add_co_ci_u32_e32 v4, vcc_lo, s5, v1, vcc_lo
	v_cmp_gt_u32_e32 vcc_lo, 15, v6
	s_movk_i32 s4, 0x64
	global_load_b64 v[3:4], v[3:4], off
	s_branch .LBB16_2
.LBB16_1:                               ;   in Loop: Header=BB16_2 Depth=1
	s_or_b32 exec_lo, exec_lo, s5
	s_add_i32 s4, s4, -1
	s_delay_alu instid0(SALU_CYCLE_1)
	s_cmp_eq_u32 s4, 0
	; wave barrier
	s_cbranch_scc1 .LBB16_22
.LBB16_2:                               ; =>This Inner Loop Header: Depth=1
	s_waitcnt vmcnt(0)
	ds_store_b64 v5, v[3:4]
	; wave barrier
	s_and_saveexec_b32 s5, vcc_lo
	s_cbranch_execz .LBB16_4
; %bb.3:                                ;   in Loop: Header=BB16_2 Depth=1
	ds_load_2addr_b64 v[6:9], v5 offset1:16
	s_waitcnt lgkmcnt(0)
	v_add_f64 v[3:4], v[6:7], v[8:9]
.LBB16_4:                               ;   in Loop: Header=BB16_2 Depth=1
	s_or_b32 exec_lo, exec_lo, s5
	; wave barrier
	s_and_saveexec_b32 s5, vcc_lo
	s_cbranch_execz .LBB16_6
; %bb.5:                                ;   in Loop: Header=BB16_2 Depth=1
	ds_store_b64 v5, v[3:4]
.LBB16_6:                               ;   in Loop: Header=BB16_2 Depth=1
	s_or_b32 exec_lo, exec_lo, s5
	; wave barrier
	s_and_saveexec_b32 s5, s0
	s_cbranch_execz .LBB16_8
; %bb.7:                                ;   in Loop: Header=BB16_2 Depth=1
	ds_load_2addr_b64 v[6:9], v5 offset1:8
	s_waitcnt lgkmcnt(0)
	v_add_f64 v[3:4], v[6:7], v[8:9]
.LBB16_8:                               ;   in Loop: Header=BB16_2 Depth=1
	s_or_b32 exec_lo, exec_lo, s5
	; wave barrier
	s_and_saveexec_b32 s5, s0
	s_cbranch_execz .LBB16_10
; %bb.9:                                ;   in Loop: Header=BB16_2 Depth=1
	ds_store_b64 v5, v[3:4]
.LBB16_10:                              ;   in Loop: Header=BB16_2 Depth=1
	s_or_b32 exec_lo, exec_lo, s5
	; wave barrier
	s_and_saveexec_b32 s5, s1
	s_cbranch_execz .LBB16_12
; %bb.11:                               ;   in Loop: Header=BB16_2 Depth=1
	ds_load_2addr_b64 v[6:9], v5 offset1:4
	s_waitcnt lgkmcnt(0)
	v_add_f64 v[3:4], v[6:7], v[8:9]
.LBB16_12:                              ;   in Loop: Header=BB16_2 Depth=1
	s_or_b32 exec_lo, exec_lo, s5
	; wave barrier
	s_and_saveexec_b32 s5, s1
	s_cbranch_execz .LBB16_14
; %bb.13:                               ;   in Loop: Header=BB16_2 Depth=1
	ds_store_b64 v5, v[3:4]
.LBB16_14:                              ;   in Loop: Header=BB16_2 Depth=1
	s_or_b32 exec_lo, exec_lo, s5
	; wave barrier
	s_and_saveexec_b32 s5, s2
	s_cbranch_execz .LBB16_16
; %bb.15:                               ;   in Loop: Header=BB16_2 Depth=1
	ds_load_2addr_b64 v[6:9], v5 offset1:2
	s_waitcnt lgkmcnt(0)
	v_add_f64 v[3:4], v[6:7], v[8:9]
.LBB16_16:                              ;   in Loop: Header=BB16_2 Depth=1
	s_or_b32 exec_lo, exec_lo, s5
	; wave barrier
	s_and_saveexec_b32 s5, s2
	s_cbranch_execz .LBB16_18
; %bb.17:                               ;   in Loop: Header=BB16_2 Depth=1
	ds_store_b64 v5, v[3:4]
.LBB16_18:                              ;   in Loop: Header=BB16_2 Depth=1
	s_or_b32 exec_lo, exec_lo, s5
	; wave barrier
	s_and_saveexec_b32 s5, s3
	s_cbranch_execz .LBB16_20
; %bb.19:                               ;   in Loop: Header=BB16_2 Depth=1
	ds_load_b64 v[3:4], v5
	ds_load_b64 v[6:7], v2 offset:8
	s_waitcnt lgkmcnt(0)
	v_add_f64 v[3:4], v[3:4], v[6:7]
.LBB16_20:                              ;   in Loop: Header=BB16_2 Depth=1
	s_or_b32 exec_lo, exec_lo, s5
	; wave barrier
	s_and_saveexec_b32 s5, s3
	s_cbranch_execz .LBB16_1
; %bb.21:                               ;   in Loop: Header=BB16_2 Depth=1
	ds_store_b64 v5, v[3:4]
	s_branch .LBB16_1
.LBB16_22:
	v_add_co_u32 v0, vcc_lo, s6, v0
	v_add_co_ci_u32_e32 v1, vcc_lo, s7, v1, vcc_lo
	global_store_b64 v[0:1], v[3:4], off
	s_nop 0
	s_sendmsg sendmsg(MSG_DEALLOC_VGPRS)
	s_endpgm
	.section	.rodata,"a",@progbits
	.p2align	6, 0x0
	.amdhsa_kernel _Z18warp_reduce_kernelIdLj31ELj100EENSt9enable_ifIXsr15benchmark_utilsE35device_test_enabled_for_warp_size_vIXT0_EEEvE4typeEPKT_PS3_
		.amdhsa_group_segment_fixed_size 248
		.amdhsa_private_segment_fixed_size 0
		.amdhsa_kernarg_size 272
		.amdhsa_user_sgpr_count 15
		.amdhsa_user_sgpr_dispatch_ptr 0
		.amdhsa_user_sgpr_queue_ptr 0
		.amdhsa_user_sgpr_kernarg_segment_ptr 1
		.amdhsa_user_sgpr_dispatch_id 0
		.amdhsa_user_sgpr_private_segment_size 0
		.amdhsa_wavefront_size32 1
		.amdhsa_uses_dynamic_stack 0
		.amdhsa_enable_private_segment 0
		.amdhsa_system_sgpr_workgroup_id_x 1
		.amdhsa_system_sgpr_workgroup_id_y 0
		.amdhsa_system_sgpr_workgroup_id_z 0
		.amdhsa_system_sgpr_workgroup_info 0
		.amdhsa_system_vgpr_workitem_id 0
		.amdhsa_next_free_vgpr 10
		.amdhsa_next_free_sgpr 16
		.amdhsa_reserve_vcc 1
		.amdhsa_float_round_mode_32 0
		.amdhsa_float_round_mode_16_64 0
		.amdhsa_float_denorm_mode_32 3
		.amdhsa_float_denorm_mode_16_64 3
		.amdhsa_dx10_clamp 1
		.amdhsa_ieee_mode 1
		.amdhsa_fp16_overflow 0
		.amdhsa_workgroup_processor_mode 1
		.amdhsa_memory_ordered 1
		.amdhsa_forward_progress 0
		.amdhsa_shared_vgpr_count 0
		.amdhsa_exception_fp_ieee_invalid_op 0
		.amdhsa_exception_fp_denorm_src 0
		.amdhsa_exception_fp_ieee_div_zero 0
		.amdhsa_exception_fp_ieee_overflow 0
		.amdhsa_exception_fp_ieee_underflow 0
		.amdhsa_exception_fp_ieee_inexact 0
		.amdhsa_exception_int_div_zero 0
	.end_amdhsa_kernel
	.section	.text._Z18warp_reduce_kernelIdLj31ELj100EENSt9enable_ifIXsr15benchmark_utilsE35device_test_enabled_for_warp_size_vIXT0_EEEvE4typeEPKT_PS3_,"axG",@progbits,_Z18warp_reduce_kernelIdLj31ELj100EENSt9enable_ifIXsr15benchmark_utilsE35device_test_enabled_for_warp_size_vIXT0_EEEvE4typeEPKT_PS3_,comdat
.Lfunc_end16:
	.size	_Z18warp_reduce_kernelIdLj31ELj100EENSt9enable_ifIXsr15benchmark_utilsE35device_test_enabled_for_warp_size_vIXT0_EEEvE4typeEPKT_PS3_, .Lfunc_end16-_Z18warp_reduce_kernelIdLj31ELj100EENSt9enable_ifIXsr15benchmark_utilsE35device_test_enabled_for_warp_size_vIXT0_EEEvE4typeEPKT_PS3_
                                        ; -- End function
	.section	.AMDGPU.csdata,"",@progbits
; Kernel info:
; codeLenInByte = 496
; NumSgprs: 18
; NumVgprs: 10
; ScratchSize: 0
; MemoryBound: 0
; FloatMode: 240
; IeeeMode: 1
; LDSByteSize: 248 bytes/workgroup (compile time only)
; SGPRBlocks: 2
; VGPRBlocks: 1
; NumSGPRsForWavesPerEU: 18
; NumVGPRsForWavesPerEU: 10
; Occupancy: 16
; WaveLimiterHint : 0
; COMPUTE_PGM_RSRC2:SCRATCH_EN: 0
; COMPUTE_PGM_RSRC2:USER_SGPR: 15
; COMPUTE_PGM_RSRC2:TRAP_HANDLER: 0
; COMPUTE_PGM_RSRC2:TGID_X_EN: 1
; COMPUTE_PGM_RSRC2:TGID_Y_EN: 0
; COMPUTE_PGM_RSRC2:TGID_Z_EN: 0
; COMPUTE_PGM_RSRC2:TIDIG_COMP_CNT: 0
	.section	.text._Z18warp_reduce_kernelIdLj32ELj100EENSt9enable_ifIXsr15benchmark_utilsE35device_test_enabled_for_warp_size_vIXT0_EEEvE4typeEPKT_PS3_,"axG",@progbits,_Z18warp_reduce_kernelIdLj32ELj100EENSt9enable_ifIXsr15benchmark_utilsE35device_test_enabled_for_warp_size_vIXT0_EEEvE4typeEPKT_PS3_,comdat
	.protected	_Z18warp_reduce_kernelIdLj32ELj100EENSt9enable_ifIXsr15benchmark_utilsE35device_test_enabled_for_warp_size_vIXT0_EEEvE4typeEPKT_PS3_ ; -- Begin function _Z18warp_reduce_kernelIdLj32ELj100EENSt9enable_ifIXsr15benchmark_utilsE35device_test_enabled_for_warp_size_vIXT0_EEEvE4typeEPKT_PS3_
	.globl	_Z18warp_reduce_kernelIdLj32ELj100EENSt9enable_ifIXsr15benchmark_utilsE35device_test_enabled_for_warp_size_vIXT0_EEEvE4typeEPKT_PS3_
	.p2align	8
	.type	_Z18warp_reduce_kernelIdLj32ELj100EENSt9enable_ifIXsr15benchmark_utilsE35device_test_enabled_for_warp_size_vIXT0_EEEvE4typeEPKT_PS3_,@function
_Z18warp_reduce_kernelIdLj32ELj100EENSt9enable_ifIXsr15benchmark_utilsE35device_test_enabled_for_warp_size_vIXT0_EEEvE4typeEPKT_PS3_: ; @_Z18warp_reduce_kernelIdLj32ELj100EENSt9enable_ifIXsr15benchmark_utilsE35device_test_enabled_for_warp_size_vIXT0_EEEvE4typeEPKT_PS3_
; %bb.0:
	s_clause 0x1
	s_load_b32 s4, s[0:1], 0x1c
	s_load_b128 s[0:3], s[0:1], 0x0
	v_mov_b32_e32 v4, 0x7c
	s_waitcnt lgkmcnt(0)
	s_and_b32 s4, s4, 0xffff
	s_delay_alu instid0(SALU_CYCLE_1) | instskip(SKIP_1) | instid1(VALU_DEP_1)
	v_mad_u64_u32 v[1:2], null, s15, s4, v[0:1]
	v_mov_b32_e32 v2, 0
	v_lshlrev_b64 v[0:1], 3, v[1:2]
	s_delay_alu instid0(VALU_DEP_1) | instskip(NEXT) | instid1(VALU_DEP_2)
	v_add_co_u32 v2, vcc_lo, s0, v0
	v_add_co_ci_u32_e32 v3, vcc_lo, s1, v1, vcc_lo
	s_movk_i32 s0, 0x64
	global_load_b64 v[2:3], v[2:3], off
	s_set_inst_prefetch_distance 0x1
	.p2align	6
.LBB17_1:                               ; =>This Inner Loop Header: Depth=1
	s_waitcnt vmcnt(0) lgkmcnt(1)
	v_mov_b32_dpp v5, v2 quad_perm:[1,0,3,2] row_mask:0xf bank_mask:0xf
	s_waitcnt lgkmcnt(0)
	v_mov_b32_dpp v6, v3 quad_perm:[1,0,3,2] row_mask:0xf bank_mask:0xf
	s_add_i32 s0, s0, -1
	s_delay_alu instid0(SALU_CYCLE_1) | instskip(NEXT) | instid1(VALU_DEP_1)
	s_cmp_eq_u32 s0, 0
	v_add_f64 v[2:3], v[2:3], v[5:6]
	s_delay_alu instid0(VALU_DEP_1) | instskip(NEXT) | instid1(VALU_DEP_2)
	v_mov_b32_dpp v5, v2 quad_perm:[2,3,0,1] row_mask:0xf bank_mask:0xf
	v_mov_b32_dpp v6, v3 quad_perm:[2,3,0,1] row_mask:0xf bank_mask:0xf
	s_delay_alu instid0(VALU_DEP_1) | instskip(NEXT) | instid1(VALU_DEP_1)
	v_add_f64 v[2:3], v[2:3], v[5:6]
	v_mov_b32_dpp v5, v2 row_ror:4 row_mask:0xf bank_mask:0xf
	s_delay_alu instid0(VALU_DEP_2) | instskip(NEXT) | instid1(VALU_DEP_1)
	v_mov_b32_dpp v6, v3 row_ror:4 row_mask:0xf bank_mask:0xf
	v_add_f64 v[2:3], v[2:3], v[5:6]
	s_delay_alu instid0(VALU_DEP_1) | instskip(NEXT) | instid1(VALU_DEP_2)
	v_mov_b32_dpp v5, v2 row_ror:8 row_mask:0xf bank_mask:0xf
	v_mov_b32_dpp v6, v3 row_ror:8 row_mask:0xf bank_mask:0xf
	s_delay_alu instid0(VALU_DEP_1)
	v_add_f64 v[2:3], v[2:3], v[5:6]
	ds_swizzle_b32 v5, v2 offset:swizzle(BROADCAST,32,15)
	ds_swizzle_b32 v6, v3 offset:swizzle(BROADCAST,32,15)
	s_waitcnt lgkmcnt(0)
	v_add_f64 v[2:3], v[2:3], v[5:6]
	ds_bpermute_b32 v2, v4, v2
	ds_bpermute_b32 v3, v4, v3
	s_cbranch_scc0 .LBB17_1
; %bb.2:
	s_set_inst_prefetch_distance 0x2
	v_add_co_u32 v0, vcc_lo, s2, v0
	v_add_co_ci_u32_e32 v1, vcc_lo, s3, v1, vcc_lo
	s_waitcnt lgkmcnt(0)
	global_store_b64 v[0:1], v[2:3], off
	s_nop 0
	s_sendmsg sendmsg(MSG_DEALLOC_VGPRS)
	s_endpgm
	.section	.rodata,"a",@progbits
	.p2align	6, 0x0
	.amdhsa_kernel _Z18warp_reduce_kernelIdLj32ELj100EENSt9enable_ifIXsr15benchmark_utilsE35device_test_enabled_for_warp_size_vIXT0_EEEvE4typeEPKT_PS3_
		.amdhsa_group_segment_fixed_size 0
		.amdhsa_private_segment_fixed_size 0
		.amdhsa_kernarg_size 272
		.amdhsa_user_sgpr_count 15
		.amdhsa_user_sgpr_dispatch_ptr 0
		.amdhsa_user_sgpr_queue_ptr 0
		.amdhsa_user_sgpr_kernarg_segment_ptr 1
		.amdhsa_user_sgpr_dispatch_id 0
		.amdhsa_user_sgpr_private_segment_size 0
		.amdhsa_wavefront_size32 1
		.amdhsa_uses_dynamic_stack 0
		.amdhsa_enable_private_segment 0
		.amdhsa_system_sgpr_workgroup_id_x 1
		.amdhsa_system_sgpr_workgroup_id_y 0
		.amdhsa_system_sgpr_workgroup_id_z 0
		.amdhsa_system_sgpr_workgroup_info 0
		.amdhsa_system_vgpr_workitem_id 0
		.amdhsa_next_free_vgpr 7
		.amdhsa_next_free_sgpr 16
		.amdhsa_reserve_vcc 1
		.amdhsa_float_round_mode_32 0
		.amdhsa_float_round_mode_16_64 0
		.amdhsa_float_denorm_mode_32 3
		.amdhsa_float_denorm_mode_16_64 3
		.amdhsa_dx10_clamp 1
		.amdhsa_ieee_mode 1
		.amdhsa_fp16_overflow 0
		.amdhsa_workgroup_processor_mode 1
		.amdhsa_memory_ordered 1
		.amdhsa_forward_progress 0
		.amdhsa_shared_vgpr_count 0
		.amdhsa_exception_fp_ieee_invalid_op 0
		.amdhsa_exception_fp_denorm_src 0
		.amdhsa_exception_fp_ieee_div_zero 0
		.amdhsa_exception_fp_ieee_overflow 0
		.amdhsa_exception_fp_ieee_underflow 0
		.amdhsa_exception_fp_ieee_inexact 0
		.amdhsa_exception_int_div_zero 0
	.end_amdhsa_kernel
	.section	.text._Z18warp_reduce_kernelIdLj32ELj100EENSt9enable_ifIXsr15benchmark_utilsE35device_test_enabled_for_warp_size_vIXT0_EEEvE4typeEPKT_PS3_,"axG",@progbits,_Z18warp_reduce_kernelIdLj32ELj100EENSt9enable_ifIXsr15benchmark_utilsE35device_test_enabled_for_warp_size_vIXT0_EEEvE4typeEPKT_PS3_,comdat
.Lfunc_end17:
	.size	_Z18warp_reduce_kernelIdLj32ELj100EENSt9enable_ifIXsr15benchmark_utilsE35device_test_enabled_for_warp_size_vIXT0_EEEvE4typeEPKT_PS3_, .Lfunc_end17-_Z18warp_reduce_kernelIdLj32ELj100EENSt9enable_ifIXsr15benchmark_utilsE35device_test_enabled_for_warp_size_vIXT0_EEEvE4typeEPKT_PS3_
                                        ; -- End function
	.section	.AMDGPU.csdata,"",@progbits
; Kernel info:
; codeLenInByte = 320
; NumSgprs: 18
; NumVgprs: 7
; ScratchSize: 0
; MemoryBound: 0
; FloatMode: 240
; IeeeMode: 1
; LDSByteSize: 0 bytes/workgroup (compile time only)
; SGPRBlocks: 2
; VGPRBlocks: 0
; NumSGPRsForWavesPerEU: 18
; NumVGPRsForWavesPerEU: 7
; Occupancy: 16
; WaveLimiterHint : 0
; COMPUTE_PGM_RSRC2:SCRATCH_EN: 0
; COMPUTE_PGM_RSRC2:USER_SGPR: 15
; COMPUTE_PGM_RSRC2:TRAP_HANDLER: 0
; COMPUTE_PGM_RSRC2:TGID_X_EN: 1
; COMPUTE_PGM_RSRC2:TGID_Y_EN: 0
; COMPUTE_PGM_RSRC2:TGID_Z_EN: 0
; COMPUTE_PGM_RSRC2:TIDIG_COMP_CNT: 0
	.section	.text._Z18warp_reduce_kernelIdLj37ELj100EENSt9enable_ifIXntsr15benchmark_utilsE35device_test_enabled_for_warp_size_vIXT0_EEEvE4typeEPKT_PS3_,"axG",@progbits,_Z18warp_reduce_kernelIdLj37ELj100EENSt9enable_ifIXntsr15benchmark_utilsE35device_test_enabled_for_warp_size_vIXT0_EEEvE4typeEPKT_PS3_,comdat
	.protected	_Z18warp_reduce_kernelIdLj37ELj100EENSt9enable_ifIXntsr15benchmark_utilsE35device_test_enabled_for_warp_size_vIXT0_EEEvE4typeEPKT_PS3_ ; -- Begin function _Z18warp_reduce_kernelIdLj37ELj100EENSt9enable_ifIXntsr15benchmark_utilsE35device_test_enabled_for_warp_size_vIXT0_EEEvE4typeEPKT_PS3_
	.globl	_Z18warp_reduce_kernelIdLj37ELj100EENSt9enable_ifIXntsr15benchmark_utilsE35device_test_enabled_for_warp_size_vIXT0_EEEvE4typeEPKT_PS3_
	.p2align	8
	.type	_Z18warp_reduce_kernelIdLj37ELj100EENSt9enable_ifIXntsr15benchmark_utilsE35device_test_enabled_for_warp_size_vIXT0_EEEvE4typeEPKT_PS3_,@function
_Z18warp_reduce_kernelIdLj37ELj100EENSt9enable_ifIXntsr15benchmark_utilsE35device_test_enabled_for_warp_size_vIXT0_EEEvE4typeEPKT_PS3_: ; @_Z18warp_reduce_kernelIdLj37ELj100EENSt9enable_ifIXntsr15benchmark_utilsE35device_test_enabled_for_warp_size_vIXT0_EEEvE4typeEPKT_PS3_
; %bb.0:
	s_endpgm
	.section	.rodata,"a",@progbits
	.p2align	6, 0x0
	.amdhsa_kernel _Z18warp_reduce_kernelIdLj37ELj100EENSt9enable_ifIXntsr15benchmark_utilsE35device_test_enabled_for_warp_size_vIXT0_EEEvE4typeEPKT_PS3_
		.amdhsa_group_segment_fixed_size 0
		.amdhsa_private_segment_fixed_size 0
		.amdhsa_kernarg_size 16
		.amdhsa_user_sgpr_count 15
		.amdhsa_user_sgpr_dispatch_ptr 0
		.amdhsa_user_sgpr_queue_ptr 0
		.amdhsa_user_sgpr_kernarg_segment_ptr 1
		.amdhsa_user_sgpr_dispatch_id 0
		.amdhsa_user_sgpr_private_segment_size 0
		.amdhsa_wavefront_size32 1
		.amdhsa_uses_dynamic_stack 0
		.amdhsa_enable_private_segment 0
		.amdhsa_system_sgpr_workgroup_id_x 1
		.amdhsa_system_sgpr_workgroup_id_y 0
		.amdhsa_system_sgpr_workgroup_id_z 0
		.amdhsa_system_sgpr_workgroup_info 0
		.amdhsa_system_vgpr_workitem_id 0
		.amdhsa_next_free_vgpr 1
		.amdhsa_next_free_sgpr 1
		.amdhsa_reserve_vcc 0
		.amdhsa_float_round_mode_32 0
		.amdhsa_float_round_mode_16_64 0
		.amdhsa_float_denorm_mode_32 3
		.amdhsa_float_denorm_mode_16_64 3
		.amdhsa_dx10_clamp 1
		.amdhsa_ieee_mode 1
		.amdhsa_fp16_overflow 0
		.amdhsa_workgroup_processor_mode 1
		.amdhsa_memory_ordered 1
		.amdhsa_forward_progress 0
		.amdhsa_shared_vgpr_count 0
		.amdhsa_exception_fp_ieee_invalid_op 0
		.amdhsa_exception_fp_denorm_src 0
		.amdhsa_exception_fp_ieee_div_zero 0
		.amdhsa_exception_fp_ieee_overflow 0
		.amdhsa_exception_fp_ieee_underflow 0
		.amdhsa_exception_fp_ieee_inexact 0
		.amdhsa_exception_int_div_zero 0
	.end_amdhsa_kernel
	.section	.text._Z18warp_reduce_kernelIdLj37ELj100EENSt9enable_ifIXntsr15benchmark_utilsE35device_test_enabled_for_warp_size_vIXT0_EEEvE4typeEPKT_PS3_,"axG",@progbits,_Z18warp_reduce_kernelIdLj37ELj100EENSt9enable_ifIXntsr15benchmark_utilsE35device_test_enabled_for_warp_size_vIXT0_EEEvE4typeEPKT_PS3_,comdat
.Lfunc_end18:
	.size	_Z18warp_reduce_kernelIdLj37ELj100EENSt9enable_ifIXntsr15benchmark_utilsE35device_test_enabled_for_warp_size_vIXT0_EEEvE4typeEPKT_PS3_, .Lfunc_end18-_Z18warp_reduce_kernelIdLj37ELj100EENSt9enable_ifIXntsr15benchmark_utilsE35device_test_enabled_for_warp_size_vIXT0_EEEvE4typeEPKT_PS3_
                                        ; -- End function
	.section	.AMDGPU.csdata,"",@progbits
; Kernel info:
; codeLenInByte = 4
; NumSgprs: 0
; NumVgprs: 0
; ScratchSize: 0
; MemoryBound: 0
; FloatMode: 240
; IeeeMode: 1
; LDSByteSize: 0 bytes/workgroup (compile time only)
; SGPRBlocks: 0
; VGPRBlocks: 0
; NumSGPRsForWavesPerEU: 1
; NumVGPRsForWavesPerEU: 1
; Occupancy: 16
; WaveLimiterHint : 0
; COMPUTE_PGM_RSRC2:SCRATCH_EN: 0
; COMPUTE_PGM_RSRC2:USER_SGPR: 15
; COMPUTE_PGM_RSRC2:TRAP_HANDLER: 0
; COMPUTE_PGM_RSRC2:TGID_X_EN: 1
; COMPUTE_PGM_RSRC2:TGID_Y_EN: 0
; COMPUTE_PGM_RSRC2:TGID_Z_EN: 0
; COMPUTE_PGM_RSRC2:TIDIG_COMP_CNT: 0
	.section	.text._Z18warp_reduce_kernelIdLj61ELj100EENSt9enable_ifIXntsr15benchmark_utilsE35device_test_enabled_for_warp_size_vIXT0_EEEvE4typeEPKT_PS3_,"axG",@progbits,_Z18warp_reduce_kernelIdLj61ELj100EENSt9enable_ifIXntsr15benchmark_utilsE35device_test_enabled_for_warp_size_vIXT0_EEEvE4typeEPKT_PS3_,comdat
	.protected	_Z18warp_reduce_kernelIdLj61ELj100EENSt9enable_ifIXntsr15benchmark_utilsE35device_test_enabled_for_warp_size_vIXT0_EEEvE4typeEPKT_PS3_ ; -- Begin function _Z18warp_reduce_kernelIdLj61ELj100EENSt9enable_ifIXntsr15benchmark_utilsE35device_test_enabled_for_warp_size_vIXT0_EEEvE4typeEPKT_PS3_
	.globl	_Z18warp_reduce_kernelIdLj61ELj100EENSt9enable_ifIXntsr15benchmark_utilsE35device_test_enabled_for_warp_size_vIXT0_EEEvE4typeEPKT_PS3_
	.p2align	8
	.type	_Z18warp_reduce_kernelIdLj61ELj100EENSt9enable_ifIXntsr15benchmark_utilsE35device_test_enabled_for_warp_size_vIXT0_EEEvE4typeEPKT_PS3_,@function
_Z18warp_reduce_kernelIdLj61ELj100EENSt9enable_ifIXntsr15benchmark_utilsE35device_test_enabled_for_warp_size_vIXT0_EEEvE4typeEPKT_PS3_: ; @_Z18warp_reduce_kernelIdLj61ELj100EENSt9enable_ifIXntsr15benchmark_utilsE35device_test_enabled_for_warp_size_vIXT0_EEEvE4typeEPKT_PS3_
; %bb.0:
	s_endpgm
	.section	.rodata,"a",@progbits
	.p2align	6, 0x0
	.amdhsa_kernel _Z18warp_reduce_kernelIdLj61ELj100EENSt9enable_ifIXntsr15benchmark_utilsE35device_test_enabled_for_warp_size_vIXT0_EEEvE4typeEPKT_PS3_
		.amdhsa_group_segment_fixed_size 0
		.amdhsa_private_segment_fixed_size 0
		.amdhsa_kernarg_size 16
		.amdhsa_user_sgpr_count 15
		.amdhsa_user_sgpr_dispatch_ptr 0
		.amdhsa_user_sgpr_queue_ptr 0
		.amdhsa_user_sgpr_kernarg_segment_ptr 1
		.amdhsa_user_sgpr_dispatch_id 0
		.amdhsa_user_sgpr_private_segment_size 0
		.amdhsa_wavefront_size32 1
		.amdhsa_uses_dynamic_stack 0
		.amdhsa_enable_private_segment 0
		.amdhsa_system_sgpr_workgroup_id_x 1
		.amdhsa_system_sgpr_workgroup_id_y 0
		.amdhsa_system_sgpr_workgroup_id_z 0
		.amdhsa_system_sgpr_workgroup_info 0
		.amdhsa_system_vgpr_workitem_id 0
		.amdhsa_next_free_vgpr 1
		.amdhsa_next_free_sgpr 1
		.amdhsa_reserve_vcc 0
		.amdhsa_float_round_mode_32 0
		.amdhsa_float_round_mode_16_64 0
		.amdhsa_float_denorm_mode_32 3
		.amdhsa_float_denorm_mode_16_64 3
		.amdhsa_dx10_clamp 1
		.amdhsa_ieee_mode 1
		.amdhsa_fp16_overflow 0
		.amdhsa_workgroup_processor_mode 1
		.amdhsa_memory_ordered 1
		.amdhsa_forward_progress 0
		.amdhsa_shared_vgpr_count 0
		.amdhsa_exception_fp_ieee_invalid_op 0
		.amdhsa_exception_fp_denorm_src 0
		.amdhsa_exception_fp_ieee_div_zero 0
		.amdhsa_exception_fp_ieee_overflow 0
		.amdhsa_exception_fp_ieee_underflow 0
		.amdhsa_exception_fp_ieee_inexact 0
		.amdhsa_exception_int_div_zero 0
	.end_amdhsa_kernel
	.section	.text._Z18warp_reduce_kernelIdLj61ELj100EENSt9enable_ifIXntsr15benchmark_utilsE35device_test_enabled_for_warp_size_vIXT0_EEEvE4typeEPKT_PS3_,"axG",@progbits,_Z18warp_reduce_kernelIdLj61ELj100EENSt9enable_ifIXntsr15benchmark_utilsE35device_test_enabled_for_warp_size_vIXT0_EEEvE4typeEPKT_PS3_,comdat
.Lfunc_end19:
	.size	_Z18warp_reduce_kernelIdLj61ELj100EENSt9enable_ifIXntsr15benchmark_utilsE35device_test_enabled_for_warp_size_vIXT0_EEEvE4typeEPKT_PS3_, .Lfunc_end19-_Z18warp_reduce_kernelIdLj61ELj100EENSt9enable_ifIXntsr15benchmark_utilsE35device_test_enabled_for_warp_size_vIXT0_EEEvE4typeEPKT_PS3_
                                        ; -- End function
	.section	.AMDGPU.csdata,"",@progbits
; Kernel info:
; codeLenInByte = 4
; NumSgprs: 0
; NumVgprs: 0
; ScratchSize: 0
; MemoryBound: 0
; FloatMode: 240
; IeeeMode: 1
; LDSByteSize: 0 bytes/workgroup (compile time only)
; SGPRBlocks: 0
; VGPRBlocks: 0
; NumSGPRsForWavesPerEU: 1
; NumVGPRsForWavesPerEU: 1
; Occupancy: 16
; WaveLimiterHint : 0
; COMPUTE_PGM_RSRC2:SCRATCH_EN: 0
; COMPUTE_PGM_RSRC2:USER_SGPR: 15
; COMPUTE_PGM_RSRC2:TRAP_HANDLER: 0
; COMPUTE_PGM_RSRC2:TGID_X_EN: 1
; COMPUTE_PGM_RSRC2:TGID_Y_EN: 0
; COMPUTE_PGM_RSRC2:TGID_Z_EN: 0
; COMPUTE_PGM_RSRC2:TIDIG_COMP_CNT: 0
	.section	.text._Z18warp_reduce_kernelIdLj64ELj100EENSt9enable_ifIXntsr15benchmark_utilsE35device_test_enabled_for_warp_size_vIXT0_EEEvE4typeEPKT_PS3_,"axG",@progbits,_Z18warp_reduce_kernelIdLj64ELj100EENSt9enable_ifIXntsr15benchmark_utilsE35device_test_enabled_for_warp_size_vIXT0_EEEvE4typeEPKT_PS3_,comdat
	.protected	_Z18warp_reduce_kernelIdLj64ELj100EENSt9enable_ifIXntsr15benchmark_utilsE35device_test_enabled_for_warp_size_vIXT0_EEEvE4typeEPKT_PS3_ ; -- Begin function _Z18warp_reduce_kernelIdLj64ELj100EENSt9enable_ifIXntsr15benchmark_utilsE35device_test_enabled_for_warp_size_vIXT0_EEEvE4typeEPKT_PS3_
	.globl	_Z18warp_reduce_kernelIdLj64ELj100EENSt9enable_ifIXntsr15benchmark_utilsE35device_test_enabled_for_warp_size_vIXT0_EEEvE4typeEPKT_PS3_
	.p2align	8
	.type	_Z18warp_reduce_kernelIdLj64ELj100EENSt9enable_ifIXntsr15benchmark_utilsE35device_test_enabled_for_warp_size_vIXT0_EEEvE4typeEPKT_PS3_,@function
_Z18warp_reduce_kernelIdLj64ELj100EENSt9enable_ifIXntsr15benchmark_utilsE35device_test_enabled_for_warp_size_vIXT0_EEEvE4typeEPKT_PS3_: ; @_Z18warp_reduce_kernelIdLj64ELj100EENSt9enable_ifIXntsr15benchmark_utilsE35device_test_enabled_for_warp_size_vIXT0_EEEvE4typeEPKT_PS3_
; %bb.0:
	s_endpgm
	.section	.rodata,"a",@progbits
	.p2align	6, 0x0
	.amdhsa_kernel _Z18warp_reduce_kernelIdLj64ELj100EENSt9enable_ifIXntsr15benchmark_utilsE35device_test_enabled_for_warp_size_vIXT0_EEEvE4typeEPKT_PS3_
		.amdhsa_group_segment_fixed_size 0
		.amdhsa_private_segment_fixed_size 0
		.amdhsa_kernarg_size 16
		.amdhsa_user_sgpr_count 15
		.amdhsa_user_sgpr_dispatch_ptr 0
		.amdhsa_user_sgpr_queue_ptr 0
		.amdhsa_user_sgpr_kernarg_segment_ptr 1
		.amdhsa_user_sgpr_dispatch_id 0
		.amdhsa_user_sgpr_private_segment_size 0
		.amdhsa_wavefront_size32 1
		.amdhsa_uses_dynamic_stack 0
		.amdhsa_enable_private_segment 0
		.amdhsa_system_sgpr_workgroup_id_x 1
		.amdhsa_system_sgpr_workgroup_id_y 0
		.amdhsa_system_sgpr_workgroup_id_z 0
		.amdhsa_system_sgpr_workgroup_info 0
		.amdhsa_system_vgpr_workitem_id 0
		.amdhsa_next_free_vgpr 1
		.amdhsa_next_free_sgpr 1
		.amdhsa_reserve_vcc 0
		.amdhsa_float_round_mode_32 0
		.amdhsa_float_round_mode_16_64 0
		.amdhsa_float_denorm_mode_32 3
		.amdhsa_float_denorm_mode_16_64 3
		.amdhsa_dx10_clamp 1
		.amdhsa_ieee_mode 1
		.amdhsa_fp16_overflow 0
		.amdhsa_workgroup_processor_mode 1
		.amdhsa_memory_ordered 1
		.amdhsa_forward_progress 0
		.amdhsa_shared_vgpr_count 0
		.amdhsa_exception_fp_ieee_invalid_op 0
		.amdhsa_exception_fp_denorm_src 0
		.amdhsa_exception_fp_ieee_div_zero 0
		.amdhsa_exception_fp_ieee_overflow 0
		.amdhsa_exception_fp_ieee_underflow 0
		.amdhsa_exception_fp_ieee_inexact 0
		.amdhsa_exception_int_div_zero 0
	.end_amdhsa_kernel
	.section	.text._Z18warp_reduce_kernelIdLj64ELj100EENSt9enable_ifIXntsr15benchmark_utilsE35device_test_enabled_for_warp_size_vIXT0_EEEvE4typeEPKT_PS3_,"axG",@progbits,_Z18warp_reduce_kernelIdLj64ELj100EENSt9enable_ifIXntsr15benchmark_utilsE35device_test_enabled_for_warp_size_vIXT0_EEEvE4typeEPKT_PS3_,comdat
.Lfunc_end20:
	.size	_Z18warp_reduce_kernelIdLj64ELj100EENSt9enable_ifIXntsr15benchmark_utilsE35device_test_enabled_for_warp_size_vIXT0_EEEvE4typeEPKT_PS3_, .Lfunc_end20-_Z18warp_reduce_kernelIdLj64ELj100EENSt9enable_ifIXntsr15benchmark_utilsE35device_test_enabled_for_warp_size_vIXT0_EEEvE4typeEPKT_PS3_
                                        ; -- End function
	.section	.AMDGPU.csdata,"",@progbits
; Kernel info:
; codeLenInByte = 4
; NumSgprs: 0
; NumVgprs: 0
; ScratchSize: 0
; MemoryBound: 0
; FloatMode: 240
; IeeeMode: 1
; LDSByteSize: 0 bytes/workgroup (compile time only)
; SGPRBlocks: 0
; VGPRBlocks: 0
; NumSGPRsForWavesPerEU: 1
; NumVGPRsForWavesPerEU: 1
; Occupancy: 16
; WaveLimiterHint : 0
; COMPUTE_PGM_RSRC2:SCRATCH_EN: 0
; COMPUTE_PGM_RSRC2:USER_SGPR: 15
; COMPUTE_PGM_RSRC2:TRAP_HANDLER: 0
; COMPUTE_PGM_RSRC2:TGID_X_EN: 1
; COMPUTE_PGM_RSRC2:TGID_Y_EN: 0
; COMPUTE_PGM_RSRC2:TGID_Z_EN: 0
; COMPUTE_PGM_RSRC2:TIDIG_COMP_CNT: 0
	.section	.text._Z18warp_reduce_kernelIaLj15ELj100EENSt9enable_ifIXsr15benchmark_utilsE35device_test_enabled_for_warp_size_vIXT0_EEEvE4typeEPKT_PS3_,"axG",@progbits,_Z18warp_reduce_kernelIaLj15ELj100EENSt9enable_ifIXsr15benchmark_utilsE35device_test_enabled_for_warp_size_vIXT0_EEEvE4typeEPKT_PS3_,comdat
	.protected	_Z18warp_reduce_kernelIaLj15ELj100EENSt9enable_ifIXsr15benchmark_utilsE35device_test_enabled_for_warp_size_vIXT0_EEEvE4typeEPKT_PS3_ ; -- Begin function _Z18warp_reduce_kernelIaLj15ELj100EENSt9enable_ifIXsr15benchmark_utilsE35device_test_enabled_for_warp_size_vIXT0_EEEvE4typeEPKT_PS3_
	.globl	_Z18warp_reduce_kernelIaLj15ELj100EENSt9enable_ifIXsr15benchmark_utilsE35device_test_enabled_for_warp_size_vIXT0_EEEvE4typeEPKT_PS3_
	.p2align	8
	.type	_Z18warp_reduce_kernelIaLj15ELj100EENSt9enable_ifIXsr15benchmark_utilsE35device_test_enabled_for_warp_size_vIXT0_EEEvE4typeEPKT_PS3_,@function
_Z18warp_reduce_kernelIaLj15ELj100EENSt9enable_ifIXsr15benchmark_utilsE35device_test_enabled_for_warp_size_vIXT0_EEEvE4typeEPKT_PS3_: ; @_Z18warp_reduce_kernelIaLj15ELj100EENSt9enable_ifIXsr15benchmark_utilsE35device_test_enabled_for_warp_size_vIXT0_EEEvE4typeEPKT_PS3_
; %bb.0:
	s_clause 0x1
	s_load_b32 s2, s[0:1], 0x1c
	s_load_b128 s[4:7], s[0:1], 0x0
	s_movk_i32 s3, 0x64
	s_waitcnt lgkmcnt(0)
	s_and_b32 s0, s2, 0xffff
	s_delay_alu instid0(SALU_CYCLE_1) | instskip(SKIP_1) | instid1(VALU_DEP_1)
	v_mad_u64_u32 v[1:2], null, s15, s0, v[0:1]
	v_mbcnt_lo_u32_b32 v0, -1, 0
	v_mul_hi_u32 v2, 0x11111112, v0
	global_load_u8 v3, v1, s[4:5]
	v_mul_u32_u24_e32 v2, 15, v2
	s_delay_alu instid0(VALU_DEP_1) | instskip(SKIP_1) | instid1(VALU_DEP_2)
	v_sub_nc_u32_e32 v0, v0, v2
	v_mov_b32_e32 v2, 0
	v_cmp_gt_u32_e32 vcc_lo, 7, v0
	v_cmp_gt_u32_e64 s0, 4, v0
	v_cmp_gt_u32_e64 s1, 2, v0
	v_cmp_eq_u32_e64 s2, 0, v0
	s_branch .LBB21_2
.LBB21_1:                               ;   in Loop: Header=BB21_2 Depth=1
	s_or_b32 exec_lo, exec_lo, s4
	s_add_i32 s3, s3, -1
	s_delay_alu instid0(SALU_CYCLE_1)
	s_cmp_eq_u32 s3, 0
	; wave barrier
	s_cbranch_scc1 .LBB21_18
.LBB21_2:                               ; =>This Inner Loop Header: Depth=1
	s_waitcnt vmcnt(0)
	ds_store_b8 v0, v3
	; wave barrier
	s_and_saveexec_b32 s4, vcc_lo
	s_cbranch_execz .LBB21_4
; %bb.3:                                ;   in Loop: Header=BB21_2 Depth=1
	ds_load_u8 v3, v0
	ds_load_u8 v4, v0 offset:8
	s_waitcnt lgkmcnt(0)
	v_add_nc_u16 v3, v4, v3
.LBB21_4:                               ;   in Loop: Header=BB21_2 Depth=1
	s_or_b32 exec_lo, exec_lo, s4
	; wave barrier
	s_and_saveexec_b32 s4, vcc_lo
	s_cbranch_execz .LBB21_6
; %bb.5:                                ;   in Loop: Header=BB21_2 Depth=1
	ds_store_b8 v0, v3
.LBB21_6:                               ;   in Loop: Header=BB21_2 Depth=1
	s_or_b32 exec_lo, exec_lo, s4
	; wave barrier
	s_and_saveexec_b32 s4, s0
	s_cbranch_execz .LBB21_8
; %bb.7:                                ;   in Loop: Header=BB21_2 Depth=1
	ds_load_u8 v3, v0
	ds_load_u8 v4, v0 offset:4
	s_waitcnt lgkmcnt(0)
	v_add_nc_u16 v3, v4, v3
.LBB21_8:                               ;   in Loop: Header=BB21_2 Depth=1
	s_or_b32 exec_lo, exec_lo, s4
	; wave barrier
	s_and_saveexec_b32 s4, s0
	s_cbranch_execz .LBB21_10
; %bb.9:                                ;   in Loop: Header=BB21_2 Depth=1
	ds_store_b8 v0, v3
.LBB21_10:                              ;   in Loop: Header=BB21_2 Depth=1
	s_or_b32 exec_lo, exec_lo, s4
	; wave barrier
	s_and_saveexec_b32 s4, s1
	s_cbranch_execz .LBB21_12
; %bb.11:                               ;   in Loop: Header=BB21_2 Depth=1
	ds_load_u8 v3, v0
	ds_load_u8 v4, v0 offset:2
	s_waitcnt lgkmcnt(0)
	v_add_nc_u16 v3, v4, v3
.LBB21_12:                              ;   in Loop: Header=BB21_2 Depth=1
	s_or_b32 exec_lo, exec_lo, s4
	; wave barrier
	s_and_saveexec_b32 s4, s1
	s_cbranch_execz .LBB21_14
; %bb.13:                               ;   in Loop: Header=BB21_2 Depth=1
	ds_store_b8 v0, v3
.LBB21_14:                              ;   in Loop: Header=BB21_2 Depth=1
	s_or_b32 exec_lo, exec_lo, s4
	; wave barrier
	s_and_saveexec_b32 s4, s2
	s_cbranch_execz .LBB21_16
; %bb.15:                               ;   in Loop: Header=BB21_2 Depth=1
	ds_load_u8 v3, v0
	ds_load_u8 v4, v2 offset:1
	s_waitcnt lgkmcnt(0)
	v_add_nc_u16 v3, v4, v3
.LBB21_16:                              ;   in Loop: Header=BB21_2 Depth=1
	s_or_b32 exec_lo, exec_lo, s4
	; wave barrier
	s_and_saveexec_b32 s4, s2
	s_cbranch_execz .LBB21_1
; %bb.17:                               ;   in Loop: Header=BB21_2 Depth=1
	ds_store_b8 v0, v3
	s_branch .LBB21_1
.LBB21_18:
	v_add_co_u32 v0, s0, s6, v1
	s_delay_alu instid0(VALU_DEP_1)
	v_add_co_ci_u32_e64 v1, null, s7, 0, s0
	global_store_b8 v[0:1], v3, off
	s_nop 0
	s_sendmsg sendmsg(MSG_DEALLOC_VGPRS)
	s_endpgm
	.section	.rodata,"a",@progbits
	.p2align	6, 0x0
	.amdhsa_kernel _Z18warp_reduce_kernelIaLj15ELj100EENSt9enable_ifIXsr15benchmark_utilsE35device_test_enabled_for_warp_size_vIXT0_EEEvE4typeEPKT_PS3_
		.amdhsa_group_segment_fixed_size 15
		.amdhsa_private_segment_fixed_size 0
		.amdhsa_kernarg_size 272
		.amdhsa_user_sgpr_count 15
		.amdhsa_user_sgpr_dispatch_ptr 0
		.amdhsa_user_sgpr_queue_ptr 0
		.amdhsa_user_sgpr_kernarg_segment_ptr 1
		.amdhsa_user_sgpr_dispatch_id 0
		.amdhsa_user_sgpr_private_segment_size 0
		.amdhsa_wavefront_size32 1
		.amdhsa_uses_dynamic_stack 0
		.amdhsa_enable_private_segment 0
		.amdhsa_system_sgpr_workgroup_id_x 1
		.amdhsa_system_sgpr_workgroup_id_y 0
		.amdhsa_system_sgpr_workgroup_id_z 0
		.amdhsa_system_sgpr_workgroup_info 0
		.amdhsa_system_vgpr_workitem_id 0
		.amdhsa_next_free_vgpr 5
		.amdhsa_next_free_sgpr 16
		.amdhsa_reserve_vcc 1
		.amdhsa_float_round_mode_32 0
		.amdhsa_float_round_mode_16_64 0
		.amdhsa_float_denorm_mode_32 3
		.amdhsa_float_denorm_mode_16_64 3
		.amdhsa_dx10_clamp 1
		.amdhsa_ieee_mode 1
		.amdhsa_fp16_overflow 0
		.amdhsa_workgroup_processor_mode 1
		.amdhsa_memory_ordered 1
		.amdhsa_forward_progress 0
		.amdhsa_shared_vgpr_count 0
		.amdhsa_exception_fp_ieee_invalid_op 0
		.amdhsa_exception_fp_denorm_src 0
		.amdhsa_exception_fp_ieee_div_zero 0
		.amdhsa_exception_fp_ieee_overflow 0
		.amdhsa_exception_fp_ieee_underflow 0
		.amdhsa_exception_fp_ieee_inexact 0
		.amdhsa_exception_int_div_zero 0
	.end_amdhsa_kernel
	.section	.text._Z18warp_reduce_kernelIaLj15ELj100EENSt9enable_ifIXsr15benchmark_utilsE35device_test_enabled_for_warp_size_vIXT0_EEEvE4typeEPKT_PS3_,"axG",@progbits,_Z18warp_reduce_kernelIaLj15ELj100EENSt9enable_ifIXsr15benchmark_utilsE35device_test_enabled_for_warp_size_vIXT0_EEEvE4typeEPKT_PS3_,comdat
.Lfunc_end21:
	.size	_Z18warp_reduce_kernelIaLj15ELj100EENSt9enable_ifIXsr15benchmark_utilsE35device_test_enabled_for_warp_size_vIXT0_EEEvE4typeEPKT_PS3_, .Lfunc_end21-_Z18warp_reduce_kernelIaLj15ELj100EENSt9enable_ifIXsr15benchmark_utilsE35device_test_enabled_for_warp_size_vIXT0_EEEvE4typeEPKT_PS3_
                                        ; -- End function
	.section	.AMDGPU.csdata,"",@progbits
; Kernel info:
; codeLenInByte = 436
; NumSgprs: 18
; NumVgprs: 5
; ScratchSize: 0
; MemoryBound: 0
; FloatMode: 240
; IeeeMode: 1
; LDSByteSize: 15 bytes/workgroup (compile time only)
; SGPRBlocks: 2
; VGPRBlocks: 0
; NumSGPRsForWavesPerEU: 18
; NumVGPRsForWavesPerEU: 5
; Occupancy: 16
; WaveLimiterHint : 0
; COMPUTE_PGM_RSRC2:SCRATCH_EN: 0
; COMPUTE_PGM_RSRC2:USER_SGPR: 15
; COMPUTE_PGM_RSRC2:TRAP_HANDLER: 0
; COMPUTE_PGM_RSRC2:TGID_X_EN: 1
; COMPUTE_PGM_RSRC2:TGID_Y_EN: 0
; COMPUTE_PGM_RSRC2:TGID_Z_EN: 0
; COMPUTE_PGM_RSRC2:TIDIG_COMP_CNT: 0
	.section	.text._Z18warp_reduce_kernelIaLj16ELj100EENSt9enable_ifIXsr15benchmark_utilsE35device_test_enabled_for_warp_size_vIXT0_EEEvE4typeEPKT_PS3_,"axG",@progbits,_Z18warp_reduce_kernelIaLj16ELj100EENSt9enable_ifIXsr15benchmark_utilsE35device_test_enabled_for_warp_size_vIXT0_EEEvE4typeEPKT_PS3_,comdat
	.protected	_Z18warp_reduce_kernelIaLj16ELj100EENSt9enable_ifIXsr15benchmark_utilsE35device_test_enabled_for_warp_size_vIXT0_EEEvE4typeEPKT_PS3_ ; -- Begin function _Z18warp_reduce_kernelIaLj16ELj100EENSt9enable_ifIXsr15benchmark_utilsE35device_test_enabled_for_warp_size_vIXT0_EEEvE4typeEPKT_PS3_
	.globl	_Z18warp_reduce_kernelIaLj16ELj100EENSt9enable_ifIXsr15benchmark_utilsE35device_test_enabled_for_warp_size_vIXT0_EEEvE4typeEPKT_PS3_
	.p2align	8
	.type	_Z18warp_reduce_kernelIaLj16ELj100EENSt9enable_ifIXsr15benchmark_utilsE35device_test_enabled_for_warp_size_vIXT0_EEEvE4typeEPKT_PS3_,@function
_Z18warp_reduce_kernelIaLj16ELj100EENSt9enable_ifIXsr15benchmark_utilsE35device_test_enabled_for_warp_size_vIXT0_EEEvE4typeEPKT_PS3_: ; @_Z18warp_reduce_kernelIaLj16ELj100EENSt9enable_ifIXsr15benchmark_utilsE35device_test_enabled_for_warp_size_vIXT0_EEEvE4typeEPKT_PS3_
; %bb.0:
	s_clause 0x1
	s_load_b32 s4, s[0:1], 0x1c
	s_load_b128 s[0:3], s[0:1], 0x0
	v_mbcnt_lo_u32_b32 v5, -1, 0
	s_waitcnt lgkmcnt(0)
	s_and_b32 s4, s4, 0xffff
	s_delay_alu instid0(SALU_CYCLE_1) | instskip(NEXT) | instid1(VALU_DEP_2)
	v_mad_u64_u32 v[1:2], null, s15, s4, v[0:1]
	v_and_b32_e32 v2, 15, v5
	s_delay_alu instid0(VALU_DEP_1) | instskip(SKIP_4) | instid1(VALU_DEP_2)
	v_cmp_gt_u32_e32 vcc_lo, 14, v2
	global_load_u8 v0, v1, s[0:1]
	s_movk_i32 s0, 0x64
	v_cndmask_b32_e64 v3, 0, 1, vcc_lo
	v_cmp_gt_u32_e32 vcc_lo, 12, v2
	v_lshlrev_b32_e32 v3, 1, v3
	v_cndmask_b32_e64 v4, 0, 1, vcc_lo
	v_cmp_gt_u32_e32 vcc_lo, 8, v2
	s_delay_alu instid0(VALU_DEP_3) | instskip(NEXT) | instid1(VALU_DEP_3)
	v_add_lshl_u32 v3, v3, v5, 2
	v_lshlrev_b32_e32 v4, 2, v4
	v_cndmask_b32_e64 v6, 0, 1, vcc_lo
	v_cmp_ne_u32_e32 vcc_lo, 15, v2
	s_delay_alu instid0(VALU_DEP_3) | instskip(NEXT) | instid1(VALU_DEP_3)
	v_add_lshl_u32 v4, v4, v5, 2
	v_lshlrev_b32_e32 v6, 3, v6
	v_add_co_ci_u32_e32 v2, vcc_lo, 0, v5, vcc_lo
	s_delay_alu instid0(VALU_DEP_2) | instskip(NEXT) | instid1(VALU_DEP_2)
	v_add_lshl_u32 v5, v6, v5, 2
	v_lshlrev_b32_e32 v2, 2, v2
	.p2align	6
.LBB22_1:                               ; =>This Inner Loop Header: Depth=1
	s_waitcnt vmcnt(0)
	s_delay_alu instid0(VALU_DEP_1) | instskip(SKIP_1) | instid1(SALU_CYCLE_1)
	v_and_b32_e32 v6, 0xff, v0
	s_add_i32 s0, s0, -1
	s_cmp_eq_u32 s0, 0
	ds_bpermute_b32 v6, v2, v6
	s_waitcnt lgkmcnt(0)
	v_add_nc_u16 v0, v0, v6
	s_delay_alu instid0(VALU_DEP_1) | instskip(SKIP_3) | instid1(VALU_DEP_1)
	v_and_b32_e32 v6, 0xff, v0
	ds_bpermute_b32 v6, v3, v6
	s_waitcnt lgkmcnt(0)
	v_add_nc_u16 v0, v0, v6
	v_and_b32_e32 v6, 0xff, v0
	ds_bpermute_b32 v6, v4, v6
	s_waitcnt lgkmcnt(0)
	v_add_nc_u16 v0, v0, v6
	s_delay_alu instid0(VALU_DEP_1)
	v_and_b32_e32 v6, 0xff, v0
	ds_bpermute_b32 v6, v5, v6
	s_waitcnt lgkmcnt(0)
	v_add_nc_u16 v0, v0, v6
	s_cbranch_scc0 .LBB22_1
; %bb.2:
	v_add_co_u32 v1, s0, s2, v1
	s_delay_alu instid0(VALU_DEP_1)
	v_add_co_ci_u32_e64 v2, null, s3, 0, s0
	global_store_b8 v[1:2], v0, off
	s_nop 0
	s_sendmsg sendmsg(MSG_DEALLOC_VGPRS)
	s_endpgm
	.section	.rodata,"a",@progbits
	.p2align	6, 0x0
	.amdhsa_kernel _Z18warp_reduce_kernelIaLj16ELj100EENSt9enable_ifIXsr15benchmark_utilsE35device_test_enabled_for_warp_size_vIXT0_EEEvE4typeEPKT_PS3_
		.amdhsa_group_segment_fixed_size 0
		.amdhsa_private_segment_fixed_size 0
		.amdhsa_kernarg_size 272
		.amdhsa_user_sgpr_count 15
		.amdhsa_user_sgpr_dispatch_ptr 0
		.amdhsa_user_sgpr_queue_ptr 0
		.amdhsa_user_sgpr_kernarg_segment_ptr 1
		.amdhsa_user_sgpr_dispatch_id 0
		.amdhsa_user_sgpr_private_segment_size 0
		.amdhsa_wavefront_size32 1
		.amdhsa_uses_dynamic_stack 0
		.amdhsa_enable_private_segment 0
		.amdhsa_system_sgpr_workgroup_id_x 1
		.amdhsa_system_sgpr_workgroup_id_y 0
		.amdhsa_system_sgpr_workgroup_id_z 0
		.amdhsa_system_sgpr_workgroup_info 0
		.amdhsa_system_vgpr_workitem_id 0
		.amdhsa_next_free_vgpr 7
		.amdhsa_next_free_sgpr 16
		.amdhsa_reserve_vcc 1
		.amdhsa_float_round_mode_32 0
		.amdhsa_float_round_mode_16_64 0
		.amdhsa_float_denorm_mode_32 3
		.amdhsa_float_denorm_mode_16_64 3
		.amdhsa_dx10_clamp 1
		.amdhsa_ieee_mode 1
		.amdhsa_fp16_overflow 0
		.amdhsa_workgroup_processor_mode 1
		.amdhsa_memory_ordered 1
		.amdhsa_forward_progress 0
		.amdhsa_shared_vgpr_count 0
		.amdhsa_exception_fp_ieee_invalid_op 0
		.amdhsa_exception_fp_denorm_src 0
		.amdhsa_exception_fp_ieee_div_zero 0
		.amdhsa_exception_fp_ieee_overflow 0
		.amdhsa_exception_fp_ieee_underflow 0
		.amdhsa_exception_fp_ieee_inexact 0
		.amdhsa_exception_int_div_zero 0
	.end_amdhsa_kernel
	.section	.text._Z18warp_reduce_kernelIaLj16ELj100EENSt9enable_ifIXsr15benchmark_utilsE35device_test_enabled_for_warp_size_vIXT0_EEEvE4typeEPKT_PS3_,"axG",@progbits,_Z18warp_reduce_kernelIaLj16ELj100EENSt9enable_ifIXsr15benchmark_utilsE35device_test_enabled_for_warp_size_vIXT0_EEEvE4typeEPKT_PS3_,comdat
.Lfunc_end22:
	.size	_Z18warp_reduce_kernelIaLj16ELj100EENSt9enable_ifIXsr15benchmark_utilsE35device_test_enabled_for_warp_size_vIXT0_EEEvE4typeEPKT_PS3_, .Lfunc_end22-_Z18warp_reduce_kernelIaLj16ELj100EENSt9enable_ifIXsr15benchmark_utilsE35device_test_enabled_for_warp_size_vIXT0_EEEvE4typeEPKT_PS3_
                                        ; -- End function
	.section	.AMDGPU.csdata,"",@progbits
; Kernel info:
; codeLenInByte = 348
; NumSgprs: 18
; NumVgprs: 7
; ScratchSize: 0
; MemoryBound: 0
; FloatMode: 240
; IeeeMode: 1
; LDSByteSize: 0 bytes/workgroup (compile time only)
; SGPRBlocks: 2
; VGPRBlocks: 0
; NumSGPRsForWavesPerEU: 18
; NumVGPRsForWavesPerEU: 7
; Occupancy: 16
; WaveLimiterHint : 0
; COMPUTE_PGM_RSRC2:SCRATCH_EN: 0
; COMPUTE_PGM_RSRC2:USER_SGPR: 15
; COMPUTE_PGM_RSRC2:TRAP_HANDLER: 0
; COMPUTE_PGM_RSRC2:TGID_X_EN: 1
; COMPUTE_PGM_RSRC2:TGID_Y_EN: 0
; COMPUTE_PGM_RSRC2:TGID_Z_EN: 0
; COMPUTE_PGM_RSRC2:TIDIG_COMP_CNT: 0
	.section	.text._Z18warp_reduce_kernelIaLj31ELj100EENSt9enable_ifIXsr15benchmark_utilsE35device_test_enabled_for_warp_size_vIXT0_EEEvE4typeEPKT_PS3_,"axG",@progbits,_Z18warp_reduce_kernelIaLj31ELj100EENSt9enable_ifIXsr15benchmark_utilsE35device_test_enabled_for_warp_size_vIXT0_EEEvE4typeEPKT_PS3_,comdat
	.protected	_Z18warp_reduce_kernelIaLj31ELj100EENSt9enable_ifIXsr15benchmark_utilsE35device_test_enabled_for_warp_size_vIXT0_EEEvE4typeEPKT_PS3_ ; -- Begin function _Z18warp_reduce_kernelIaLj31ELj100EENSt9enable_ifIXsr15benchmark_utilsE35device_test_enabled_for_warp_size_vIXT0_EEEvE4typeEPKT_PS3_
	.globl	_Z18warp_reduce_kernelIaLj31ELj100EENSt9enable_ifIXsr15benchmark_utilsE35device_test_enabled_for_warp_size_vIXT0_EEEvE4typeEPKT_PS3_
	.p2align	8
	.type	_Z18warp_reduce_kernelIaLj31ELj100EENSt9enable_ifIXsr15benchmark_utilsE35device_test_enabled_for_warp_size_vIXT0_EEEvE4typeEPKT_PS3_,@function
_Z18warp_reduce_kernelIaLj31ELj100EENSt9enable_ifIXsr15benchmark_utilsE35device_test_enabled_for_warp_size_vIXT0_EEEvE4typeEPKT_PS3_: ; @_Z18warp_reduce_kernelIaLj31ELj100EENSt9enable_ifIXsr15benchmark_utilsE35device_test_enabled_for_warp_size_vIXT0_EEEvE4typeEPKT_PS3_
; %bb.0:
	s_clause 0x1
	s_load_b32 s2, s[0:1], 0x1c
	s_load_b128 s[4:7], s[0:1], 0x0
	s_waitcnt lgkmcnt(0)
	s_and_b32 s0, s2, 0xffff
	s_delay_alu instid0(SALU_CYCLE_1) | instskip(SKIP_1) | instid1(VALU_DEP_1)
	v_mad_u64_u32 v[1:2], null, s15, s0, v[0:1]
	v_mbcnt_lo_u32_b32 v0, -1, 0
	v_mul_hi_u32 v2, 0x8421085, v0
	global_load_u8 v3, v1, s[4:5]
	s_movk_i32 s4, 0x64
	v_mul_u32_u24_e32 v2, 31, v2
	s_delay_alu instid0(VALU_DEP_1) | instskip(SKIP_1) | instid1(VALU_DEP_2)
	v_sub_nc_u32_e32 v0, v0, v2
	v_mov_b32_e32 v2, 0
	v_cmp_gt_u32_e32 vcc_lo, 15, v0
	v_cmp_gt_u32_e64 s0, 8, v0
	v_cmp_gt_u32_e64 s1, 4, v0
	;; [unrolled: 1-line block ×3, first 2 shown]
	v_cmp_eq_u32_e64 s3, 0, v0
	s_branch .LBB23_2
.LBB23_1:                               ;   in Loop: Header=BB23_2 Depth=1
	s_or_b32 exec_lo, exec_lo, s5
	s_add_i32 s4, s4, -1
	s_delay_alu instid0(SALU_CYCLE_1)
	s_cmp_eq_u32 s4, 0
	; wave barrier
	s_cbranch_scc1 .LBB23_22
.LBB23_2:                               ; =>This Inner Loop Header: Depth=1
	s_waitcnt vmcnt(0)
	ds_store_b8 v0, v3
	; wave barrier
	s_and_saveexec_b32 s5, vcc_lo
	s_cbranch_execz .LBB23_4
; %bb.3:                                ;   in Loop: Header=BB23_2 Depth=1
	ds_load_u8 v3, v0
	ds_load_u8 v4, v0 offset:16
	s_waitcnt lgkmcnt(0)
	v_add_nc_u16 v3, v4, v3
.LBB23_4:                               ;   in Loop: Header=BB23_2 Depth=1
	s_or_b32 exec_lo, exec_lo, s5
	; wave barrier
	s_and_saveexec_b32 s5, vcc_lo
	s_cbranch_execz .LBB23_6
; %bb.5:                                ;   in Loop: Header=BB23_2 Depth=1
	ds_store_b8 v0, v3
.LBB23_6:                               ;   in Loop: Header=BB23_2 Depth=1
	s_or_b32 exec_lo, exec_lo, s5
	; wave barrier
	s_and_saveexec_b32 s5, s0
	s_cbranch_execz .LBB23_8
; %bb.7:                                ;   in Loop: Header=BB23_2 Depth=1
	ds_load_u8 v3, v0
	ds_load_u8 v4, v0 offset:8
	s_waitcnt lgkmcnt(0)
	v_add_nc_u16 v3, v4, v3
.LBB23_8:                               ;   in Loop: Header=BB23_2 Depth=1
	s_or_b32 exec_lo, exec_lo, s5
	; wave barrier
	s_and_saveexec_b32 s5, s0
	s_cbranch_execz .LBB23_10
; %bb.9:                                ;   in Loop: Header=BB23_2 Depth=1
	ds_store_b8 v0, v3
.LBB23_10:                              ;   in Loop: Header=BB23_2 Depth=1
	s_or_b32 exec_lo, exec_lo, s5
	; wave barrier
	s_and_saveexec_b32 s5, s1
	s_cbranch_execz .LBB23_12
; %bb.11:                               ;   in Loop: Header=BB23_2 Depth=1
	ds_load_u8 v3, v0
	ds_load_u8 v4, v0 offset:4
	s_waitcnt lgkmcnt(0)
	v_add_nc_u16 v3, v4, v3
.LBB23_12:                              ;   in Loop: Header=BB23_2 Depth=1
	s_or_b32 exec_lo, exec_lo, s5
	; wave barrier
	s_and_saveexec_b32 s5, s1
	s_cbranch_execz .LBB23_14
; %bb.13:                               ;   in Loop: Header=BB23_2 Depth=1
	ds_store_b8 v0, v3
.LBB23_14:                              ;   in Loop: Header=BB23_2 Depth=1
	s_or_b32 exec_lo, exec_lo, s5
	; wave barrier
	s_and_saveexec_b32 s5, s2
	s_cbranch_execz .LBB23_16
; %bb.15:                               ;   in Loop: Header=BB23_2 Depth=1
	ds_load_u8 v3, v0
	ds_load_u8 v4, v0 offset:2
	s_waitcnt lgkmcnt(0)
	v_add_nc_u16 v3, v4, v3
.LBB23_16:                              ;   in Loop: Header=BB23_2 Depth=1
	s_or_b32 exec_lo, exec_lo, s5
	; wave barrier
	s_and_saveexec_b32 s5, s2
	s_cbranch_execz .LBB23_18
; %bb.17:                               ;   in Loop: Header=BB23_2 Depth=1
	ds_store_b8 v0, v3
.LBB23_18:                              ;   in Loop: Header=BB23_2 Depth=1
	s_or_b32 exec_lo, exec_lo, s5
	; wave barrier
	s_and_saveexec_b32 s5, s3
	s_cbranch_execz .LBB23_20
; %bb.19:                               ;   in Loop: Header=BB23_2 Depth=1
	ds_load_u8 v3, v0
	ds_load_u8 v4, v2 offset:1
	s_waitcnt lgkmcnt(0)
	v_add_nc_u16 v3, v4, v3
.LBB23_20:                              ;   in Loop: Header=BB23_2 Depth=1
	s_or_b32 exec_lo, exec_lo, s5
	; wave barrier
	s_and_saveexec_b32 s5, s3
	s_cbranch_execz .LBB23_1
; %bb.21:                               ;   in Loop: Header=BB23_2 Depth=1
	ds_store_b8 v0, v3
	s_branch .LBB23_1
.LBB23_22:
	v_add_co_u32 v0, s0, s6, v1
	s_delay_alu instid0(VALU_DEP_1)
	v_add_co_ci_u32_e64 v1, null, s7, 0, s0
	global_store_b8 v[0:1], v3, off
	s_nop 0
	s_sendmsg sendmsg(MSG_DEALLOC_VGPRS)
	s_endpgm
	.section	.rodata,"a",@progbits
	.p2align	6, 0x0
	.amdhsa_kernel _Z18warp_reduce_kernelIaLj31ELj100EENSt9enable_ifIXsr15benchmark_utilsE35device_test_enabled_for_warp_size_vIXT0_EEEvE4typeEPKT_PS3_
		.amdhsa_group_segment_fixed_size 31
		.amdhsa_private_segment_fixed_size 0
		.amdhsa_kernarg_size 272
		.amdhsa_user_sgpr_count 15
		.amdhsa_user_sgpr_dispatch_ptr 0
		.amdhsa_user_sgpr_queue_ptr 0
		.amdhsa_user_sgpr_kernarg_segment_ptr 1
		.amdhsa_user_sgpr_dispatch_id 0
		.amdhsa_user_sgpr_private_segment_size 0
		.amdhsa_wavefront_size32 1
		.amdhsa_uses_dynamic_stack 0
		.amdhsa_enable_private_segment 0
		.amdhsa_system_sgpr_workgroup_id_x 1
		.amdhsa_system_sgpr_workgroup_id_y 0
		.amdhsa_system_sgpr_workgroup_id_z 0
		.amdhsa_system_sgpr_workgroup_info 0
		.amdhsa_system_vgpr_workitem_id 0
		.amdhsa_next_free_vgpr 5
		.amdhsa_next_free_sgpr 16
		.amdhsa_reserve_vcc 1
		.amdhsa_float_round_mode_32 0
		.amdhsa_float_round_mode_16_64 0
		.amdhsa_float_denorm_mode_32 3
		.amdhsa_float_denorm_mode_16_64 3
		.amdhsa_dx10_clamp 1
		.amdhsa_ieee_mode 1
		.amdhsa_fp16_overflow 0
		.amdhsa_workgroup_processor_mode 1
		.amdhsa_memory_ordered 1
		.amdhsa_forward_progress 0
		.amdhsa_shared_vgpr_count 0
		.amdhsa_exception_fp_ieee_invalid_op 0
		.amdhsa_exception_fp_denorm_src 0
		.amdhsa_exception_fp_ieee_div_zero 0
		.amdhsa_exception_fp_ieee_overflow 0
		.amdhsa_exception_fp_ieee_underflow 0
		.amdhsa_exception_fp_ieee_inexact 0
		.amdhsa_exception_int_div_zero 0
	.end_amdhsa_kernel
	.section	.text._Z18warp_reduce_kernelIaLj31ELj100EENSt9enable_ifIXsr15benchmark_utilsE35device_test_enabled_for_warp_size_vIXT0_EEEvE4typeEPKT_PS3_,"axG",@progbits,_Z18warp_reduce_kernelIaLj31ELj100EENSt9enable_ifIXsr15benchmark_utilsE35device_test_enabled_for_warp_size_vIXT0_EEEvE4typeEPKT_PS3_,comdat
.Lfunc_end23:
	.size	_Z18warp_reduce_kernelIaLj31ELj100EENSt9enable_ifIXsr15benchmark_utilsE35device_test_enabled_for_warp_size_vIXT0_EEEvE4typeEPKT_PS3_, .Lfunc_end23-_Z18warp_reduce_kernelIaLj31ELj100EENSt9enable_ifIXsr15benchmark_utilsE35device_test_enabled_for_warp_size_vIXT0_EEEvE4typeEPKT_PS3_
                                        ; -- End function
	.section	.AMDGPU.csdata,"",@progbits
; Kernel info:
; codeLenInByte = 504
; NumSgprs: 18
; NumVgprs: 5
; ScratchSize: 0
; MemoryBound: 0
; FloatMode: 240
; IeeeMode: 1
; LDSByteSize: 31 bytes/workgroup (compile time only)
; SGPRBlocks: 2
; VGPRBlocks: 0
; NumSGPRsForWavesPerEU: 18
; NumVGPRsForWavesPerEU: 5
; Occupancy: 16
; WaveLimiterHint : 0
; COMPUTE_PGM_RSRC2:SCRATCH_EN: 0
; COMPUTE_PGM_RSRC2:USER_SGPR: 15
; COMPUTE_PGM_RSRC2:TRAP_HANDLER: 0
; COMPUTE_PGM_RSRC2:TGID_X_EN: 1
; COMPUTE_PGM_RSRC2:TGID_Y_EN: 0
; COMPUTE_PGM_RSRC2:TGID_Z_EN: 0
; COMPUTE_PGM_RSRC2:TIDIG_COMP_CNT: 0
	.section	.text._Z18warp_reduce_kernelIaLj32ELj100EENSt9enable_ifIXsr15benchmark_utilsE35device_test_enabled_for_warp_size_vIXT0_EEEvE4typeEPKT_PS3_,"axG",@progbits,_Z18warp_reduce_kernelIaLj32ELj100EENSt9enable_ifIXsr15benchmark_utilsE35device_test_enabled_for_warp_size_vIXT0_EEEvE4typeEPKT_PS3_,comdat
	.protected	_Z18warp_reduce_kernelIaLj32ELj100EENSt9enable_ifIXsr15benchmark_utilsE35device_test_enabled_for_warp_size_vIXT0_EEEvE4typeEPKT_PS3_ ; -- Begin function _Z18warp_reduce_kernelIaLj32ELj100EENSt9enable_ifIXsr15benchmark_utilsE35device_test_enabled_for_warp_size_vIXT0_EEEvE4typeEPKT_PS3_
	.globl	_Z18warp_reduce_kernelIaLj32ELj100EENSt9enable_ifIXsr15benchmark_utilsE35device_test_enabled_for_warp_size_vIXT0_EEEvE4typeEPKT_PS3_
	.p2align	8
	.type	_Z18warp_reduce_kernelIaLj32ELj100EENSt9enable_ifIXsr15benchmark_utilsE35device_test_enabled_for_warp_size_vIXT0_EEEvE4typeEPKT_PS3_,@function
_Z18warp_reduce_kernelIaLj32ELj100EENSt9enable_ifIXsr15benchmark_utilsE35device_test_enabled_for_warp_size_vIXT0_EEEvE4typeEPKT_PS3_: ; @_Z18warp_reduce_kernelIaLj32ELj100EENSt9enable_ifIXsr15benchmark_utilsE35device_test_enabled_for_warp_size_vIXT0_EEEvE4typeEPKT_PS3_
; %bb.0:
	s_clause 0x1
	s_load_b32 s4, s[0:1], 0x1c
	s_load_b128 s[0:3], s[0:1], 0x0
	s_waitcnt lgkmcnt(0)
	s_and_b32 s4, s4, 0xffff
	s_delay_alu instid0(SALU_CYCLE_1)
	v_mad_u64_u32 v[1:2], null, s15, s4, v[0:1]
	v_mov_b32_e32 v0, 0x7c
	global_load_u8 v2, v1, s[0:1]
	s_movk_i32 s0, 0x64
	s_set_inst_prefetch_distance 0x1
	.p2align	6
.LBB24_1:                               ; =>This Inner Loop Header: Depth=1
	s_waitcnt vmcnt(0) lgkmcnt(0)
	v_and_b32_e32 v3, 0xff, v2
	s_add_i32 s0, s0, -1
	s_delay_alu instid0(SALU_CYCLE_1) | instskip(NEXT) | instid1(VALU_DEP_1)
	s_cmp_eq_u32 s0, 0
	v_mov_b32_dpp v3, v3 quad_perm:[1,0,3,2] row_mask:0xf bank_mask:0xf
	s_delay_alu instid0(VALU_DEP_1) | instskip(NEXT) | instid1(VALU_DEP_1)
	v_add_nc_u16 v2, v2, v3
	v_and_b32_e32 v3, 0xff, v2
	s_delay_alu instid0(VALU_DEP_1) | instskip(NEXT) | instid1(VALU_DEP_1)
	v_mov_b32_dpp v3, v3 quad_perm:[2,3,0,1] row_mask:0xf bank_mask:0xf
	v_add_nc_u16 v2, v2, v3
	s_delay_alu instid0(VALU_DEP_1) | instskip(NEXT) | instid1(VALU_DEP_1)
	v_and_b32_e32 v3, 0xff, v2
	v_mov_b32_dpp v3, v3 row_ror:4 row_mask:0xf bank_mask:0xf
	s_delay_alu instid0(VALU_DEP_1) | instskip(NEXT) | instid1(VALU_DEP_1)
	v_add_nc_u16 v2, v2, v3
	v_and_b32_e32 v3, 0xff, v2
	s_delay_alu instid0(VALU_DEP_1) | instskip(NEXT) | instid1(VALU_DEP_1)
	v_mov_b32_dpp v3, v3 row_ror:8 row_mask:0xf bank_mask:0xf
	v_add_nc_u16 v2, v2, v3
	s_delay_alu instid0(VALU_DEP_1) | instskip(SKIP_3) | instid1(VALU_DEP_1)
	v_and_b32_e32 v3, 0xff, v2
	ds_swizzle_b32 v3, v3 offset:swizzle(BROADCAST,32,15)
	s_waitcnt lgkmcnt(0)
	v_add_nc_u16 v2, v2, v3
	v_and_b32_e32 v2, 0xff, v2
	ds_bpermute_b32 v2, v0, v2
	s_cbranch_scc0 .LBB24_1
; %bb.2:
	s_set_inst_prefetch_distance 0x2
	v_add_co_u32 v0, s0, s2, v1
	s_delay_alu instid0(VALU_DEP_1)
	v_add_co_ci_u32_e64 v1, null, s3, 0, s0
	s_waitcnt lgkmcnt(0)
	global_store_b8 v[0:1], v2, off
	s_nop 0
	s_sendmsg sendmsg(MSG_DEALLOC_VGPRS)
	s_endpgm
	.section	.rodata,"a",@progbits
	.p2align	6, 0x0
	.amdhsa_kernel _Z18warp_reduce_kernelIaLj32ELj100EENSt9enable_ifIXsr15benchmark_utilsE35device_test_enabled_for_warp_size_vIXT0_EEEvE4typeEPKT_PS3_
		.amdhsa_group_segment_fixed_size 0
		.amdhsa_private_segment_fixed_size 0
		.amdhsa_kernarg_size 272
		.amdhsa_user_sgpr_count 15
		.amdhsa_user_sgpr_dispatch_ptr 0
		.amdhsa_user_sgpr_queue_ptr 0
		.amdhsa_user_sgpr_kernarg_segment_ptr 1
		.amdhsa_user_sgpr_dispatch_id 0
		.amdhsa_user_sgpr_private_segment_size 0
		.amdhsa_wavefront_size32 1
		.amdhsa_uses_dynamic_stack 0
		.amdhsa_enable_private_segment 0
		.amdhsa_system_sgpr_workgroup_id_x 1
		.amdhsa_system_sgpr_workgroup_id_y 0
		.amdhsa_system_sgpr_workgroup_id_z 0
		.amdhsa_system_sgpr_workgroup_info 0
		.amdhsa_system_vgpr_workitem_id 0
		.amdhsa_next_free_vgpr 4
		.amdhsa_next_free_sgpr 16
		.amdhsa_reserve_vcc 0
		.amdhsa_float_round_mode_32 0
		.amdhsa_float_round_mode_16_64 0
		.amdhsa_float_denorm_mode_32 3
		.amdhsa_float_denorm_mode_16_64 3
		.amdhsa_dx10_clamp 1
		.amdhsa_ieee_mode 1
		.amdhsa_fp16_overflow 0
		.amdhsa_workgroup_processor_mode 1
		.amdhsa_memory_ordered 1
		.amdhsa_forward_progress 0
		.amdhsa_shared_vgpr_count 0
		.amdhsa_exception_fp_ieee_invalid_op 0
		.amdhsa_exception_fp_denorm_src 0
		.amdhsa_exception_fp_ieee_div_zero 0
		.amdhsa_exception_fp_ieee_overflow 0
		.amdhsa_exception_fp_ieee_underflow 0
		.amdhsa_exception_fp_ieee_inexact 0
		.amdhsa_exception_int_div_zero 0
	.end_amdhsa_kernel
	.section	.text._Z18warp_reduce_kernelIaLj32ELj100EENSt9enable_ifIXsr15benchmark_utilsE35device_test_enabled_for_warp_size_vIXT0_EEEvE4typeEPKT_PS3_,"axG",@progbits,_Z18warp_reduce_kernelIaLj32ELj100EENSt9enable_ifIXsr15benchmark_utilsE35device_test_enabled_for_warp_size_vIXT0_EEEvE4typeEPKT_PS3_,comdat
.Lfunc_end24:
	.size	_Z18warp_reduce_kernelIaLj32ELj100EENSt9enable_ifIXsr15benchmark_utilsE35device_test_enabled_for_warp_size_vIXT0_EEEvE4typeEPKT_PS3_, .Lfunc_end24-_Z18warp_reduce_kernelIaLj32ELj100EENSt9enable_ifIXsr15benchmark_utilsE35device_test_enabled_for_warp_size_vIXT0_EEEvE4typeEPKT_PS3_
                                        ; -- End function
	.section	.AMDGPU.csdata,"",@progbits
; Kernel info:
; codeLenInByte = 300
; NumSgprs: 16
; NumVgprs: 4
; ScratchSize: 0
; MemoryBound: 0
; FloatMode: 240
; IeeeMode: 1
; LDSByteSize: 0 bytes/workgroup (compile time only)
; SGPRBlocks: 1
; VGPRBlocks: 0
; NumSGPRsForWavesPerEU: 16
; NumVGPRsForWavesPerEU: 4
; Occupancy: 16
; WaveLimiterHint : 0
; COMPUTE_PGM_RSRC2:SCRATCH_EN: 0
; COMPUTE_PGM_RSRC2:USER_SGPR: 15
; COMPUTE_PGM_RSRC2:TRAP_HANDLER: 0
; COMPUTE_PGM_RSRC2:TGID_X_EN: 1
; COMPUTE_PGM_RSRC2:TGID_Y_EN: 0
; COMPUTE_PGM_RSRC2:TGID_Z_EN: 0
; COMPUTE_PGM_RSRC2:TIDIG_COMP_CNT: 0
	.section	.text._Z18warp_reduce_kernelIaLj37ELj100EENSt9enable_ifIXntsr15benchmark_utilsE35device_test_enabled_for_warp_size_vIXT0_EEEvE4typeEPKT_PS3_,"axG",@progbits,_Z18warp_reduce_kernelIaLj37ELj100EENSt9enable_ifIXntsr15benchmark_utilsE35device_test_enabled_for_warp_size_vIXT0_EEEvE4typeEPKT_PS3_,comdat
	.protected	_Z18warp_reduce_kernelIaLj37ELj100EENSt9enable_ifIXntsr15benchmark_utilsE35device_test_enabled_for_warp_size_vIXT0_EEEvE4typeEPKT_PS3_ ; -- Begin function _Z18warp_reduce_kernelIaLj37ELj100EENSt9enable_ifIXntsr15benchmark_utilsE35device_test_enabled_for_warp_size_vIXT0_EEEvE4typeEPKT_PS3_
	.globl	_Z18warp_reduce_kernelIaLj37ELj100EENSt9enable_ifIXntsr15benchmark_utilsE35device_test_enabled_for_warp_size_vIXT0_EEEvE4typeEPKT_PS3_
	.p2align	8
	.type	_Z18warp_reduce_kernelIaLj37ELj100EENSt9enable_ifIXntsr15benchmark_utilsE35device_test_enabled_for_warp_size_vIXT0_EEEvE4typeEPKT_PS3_,@function
_Z18warp_reduce_kernelIaLj37ELj100EENSt9enable_ifIXntsr15benchmark_utilsE35device_test_enabled_for_warp_size_vIXT0_EEEvE4typeEPKT_PS3_: ; @_Z18warp_reduce_kernelIaLj37ELj100EENSt9enable_ifIXntsr15benchmark_utilsE35device_test_enabled_for_warp_size_vIXT0_EEEvE4typeEPKT_PS3_
; %bb.0:
	s_endpgm
	.section	.rodata,"a",@progbits
	.p2align	6, 0x0
	.amdhsa_kernel _Z18warp_reduce_kernelIaLj37ELj100EENSt9enable_ifIXntsr15benchmark_utilsE35device_test_enabled_for_warp_size_vIXT0_EEEvE4typeEPKT_PS3_
		.amdhsa_group_segment_fixed_size 0
		.amdhsa_private_segment_fixed_size 0
		.amdhsa_kernarg_size 16
		.amdhsa_user_sgpr_count 15
		.amdhsa_user_sgpr_dispatch_ptr 0
		.amdhsa_user_sgpr_queue_ptr 0
		.amdhsa_user_sgpr_kernarg_segment_ptr 1
		.amdhsa_user_sgpr_dispatch_id 0
		.amdhsa_user_sgpr_private_segment_size 0
		.amdhsa_wavefront_size32 1
		.amdhsa_uses_dynamic_stack 0
		.amdhsa_enable_private_segment 0
		.amdhsa_system_sgpr_workgroup_id_x 1
		.amdhsa_system_sgpr_workgroup_id_y 0
		.amdhsa_system_sgpr_workgroup_id_z 0
		.amdhsa_system_sgpr_workgroup_info 0
		.amdhsa_system_vgpr_workitem_id 0
		.amdhsa_next_free_vgpr 1
		.amdhsa_next_free_sgpr 1
		.amdhsa_reserve_vcc 0
		.amdhsa_float_round_mode_32 0
		.amdhsa_float_round_mode_16_64 0
		.amdhsa_float_denorm_mode_32 3
		.amdhsa_float_denorm_mode_16_64 3
		.amdhsa_dx10_clamp 1
		.amdhsa_ieee_mode 1
		.amdhsa_fp16_overflow 0
		.amdhsa_workgroup_processor_mode 1
		.amdhsa_memory_ordered 1
		.amdhsa_forward_progress 0
		.amdhsa_shared_vgpr_count 0
		.amdhsa_exception_fp_ieee_invalid_op 0
		.amdhsa_exception_fp_denorm_src 0
		.amdhsa_exception_fp_ieee_div_zero 0
		.amdhsa_exception_fp_ieee_overflow 0
		.amdhsa_exception_fp_ieee_underflow 0
		.amdhsa_exception_fp_ieee_inexact 0
		.amdhsa_exception_int_div_zero 0
	.end_amdhsa_kernel
	.section	.text._Z18warp_reduce_kernelIaLj37ELj100EENSt9enable_ifIXntsr15benchmark_utilsE35device_test_enabled_for_warp_size_vIXT0_EEEvE4typeEPKT_PS3_,"axG",@progbits,_Z18warp_reduce_kernelIaLj37ELj100EENSt9enable_ifIXntsr15benchmark_utilsE35device_test_enabled_for_warp_size_vIXT0_EEEvE4typeEPKT_PS3_,comdat
.Lfunc_end25:
	.size	_Z18warp_reduce_kernelIaLj37ELj100EENSt9enable_ifIXntsr15benchmark_utilsE35device_test_enabled_for_warp_size_vIXT0_EEEvE4typeEPKT_PS3_, .Lfunc_end25-_Z18warp_reduce_kernelIaLj37ELj100EENSt9enable_ifIXntsr15benchmark_utilsE35device_test_enabled_for_warp_size_vIXT0_EEEvE4typeEPKT_PS3_
                                        ; -- End function
	.section	.AMDGPU.csdata,"",@progbits
; Kernel info:
; codeLenInByte = 4
; NumSgprs: 0
; NumVgprs: 0
; ScratchSize: 0
; MemoryBound: 0
; FloatMode: 240
; IeeeMode: 1
; LDSByteSize: 0 bytes/workgroup (compile time only)
; SGPRBlocks: 0
; VGPRBlocks: 0
; NumSGPRsForWavesPerEU: 1
; NumVGPRsForWavesPerEU: 1
; Occupancy: 16
; WaveLimiterHint : 0
; COMPUTE_PGM_RSRC2:SCRATCH_EN: 0
; COMPUTE_PGM_RSRC2:USER_SGPR: 15
; COMPUTE_PGM_RSRC2:TRAP_HANDLER: 0
; COMPUTE_PGM_RSRC2:TGID_X_EN: 1
; COMPUTE_PGM_RSRC2:TGID_Y_EN: 0
; COMPUTE_PGM_RSRC2:TGID_Z_EN: 0
; COMPUTE_PGM_RSRC2:TIDIG_COMP_CNT: 0
	.section	.text._Z18warp_reduce_kernelIaLj61ELj100EENSt9enable_ifIXntsr15benchmark_utilsE35device_test_enabled_for_warp_size_vIXT0_EEEvE4typeEPKT_PS3_,"axG",@progbits,_Z18warp_reduce_kernelIaLj61ELj100EENSt9enable_ifIXntsr15benchmark_utilsE35device_test_enabled_for_warp_size_vIXT0_EEEvE4typeEPKT_PS3_,comdat
	.protected	_Z18warp_reduce_kernelIaLj61ELj100EENSt9enable_ifIXntsr15benchmark_utilsE35device_test_enabled_for_warp_size_vIXT0_EEEvE4typeEPKT_PS3_ ; -- Begin function _Z18warp_reduce_kernelIaLj61ELj100EENSt9enable_ifIXntsr15benchmark_utilsE35device_test_enabled_for_warp_size_vIXT0_EEEvE4typeEPKT_PS3_
	.globl	_Z18warp_reduce_kernelIaLj61ELj100EENSt9enable_ifIXntsr15benchmark_utilsE35device_test_enabled_for_warp_size_vIXT0_EEEvE4typeEPKT_PS3_
	.p2align	8
	.type	_Z18warp_reduce_kernelIaLj61ELj100EENSt9enable_ifIXntsr15benchmark_utilsE35device_test_enabled_for_warp_size_vIXT0_EEEvE4typeEPKT_PS3_,@function
_Z18warp_reduce_kernelIaLj61ELj100EENSt9enable_ifIXntsr15benchmark_utilsE35device_test_enabled_for_warp_size_vIXT0_EEEvE4typeEPKT_PS3_: ; @_Z18warp_reduce_kernelIaLj61ELj100EENSt9enable_ifIXntsr15benchmark_utilsE35device_test_enabled_for_warp_size_vIXT0_EEEvE4typeEPKT_PS3_
; %bb.0:
	s_endpgm
	.section	.rodata,"a",@progbits
	.p2align	6, 0x0
	.amdhsa_kernel _Z18warp_reduce_kernelIaLj61ELj100EENSt9enable_ifIXntsr15benchmark_utilsE35device_test_enabled_for_warp_size_vIXT0_EEEvE4typeEPKT_PS3_
		.amdhsa_group_segment_fixed_size 0
		.amdhsa_private_segment_fixed_size 0
		.amdhsa_kernarg_size 16
		.amdhsa_user_sgpr_count 15
		.amdhsa_user_sgpr_dispatch_ptr 0
		.amdhsa_user_sgpr_queue_ptr 0
		.amdhsa_user_sgpr_kernarg_segment_ptr 1
		.amdhsa_user_sgpr_dispatch_id 0
		.amdhsa_user_sgpr_private_segment_size 0
		.amdhsa_wavefront_size32 1
		.amdhsa_uses_dynamic_stack 0
		.amdhsa_enable_private_segment 0
		.amdhsa_system_sgpr_workgroup_id_x 1
		.amdhsa_system_sgpr_workgroup_id_y 0
		.amdhsa_system_sgpr_workgroup_id_z 0
		.amdhsa_system_sgpr_workgroup_info 0
		.amdhsa_system_vgpr_workitem_id 0
		.amdhsa_next_free_vgpr 1
		.amdhsa_next_free_sgpr 1
		.amdhsa_reserve_vcc 0
		.amdhsa_float_round_mode_32 0
		.amdhsa_float_round_mode_16_64 0
		.amdhsa_float_denorm_mode_32 3
		.amdhsa_float_denorm_mode_16_64 3
		.amdhsa_dx10_clamp 1
		.amdhsa_ieee_mode 1
		.amdhsa_fp16_overflow 0
		.amdhsa_workgroup_processor_mode 1
		.amdhsa_memory_ordered 1
		.amdhsa_forward_progress 0
		.amdhsa_shared_vgpr_count 0
		.amdhsa_exception_fp_ieee_invalid_op 0
		.amdhsa_exception_fp_denorm_src 0
		.amdhsa_exception_fp_ieee_div_zero 0
		.amdhsa_exception_fp_ieee_overflow 0
		.amdhsa_exception_fp_ieee_underflow 0
		.amdhsa_exception_fp_ieee_inexact 0
		.amdhsa_exception_int_div_zero 0
	.end_amdhsa_kernel
	.section	.text._Z18warp_reduce_kernelIaLj61ELj100EENSt9enable_ifIXntsr15benchmark_utilsE35device_test_enabled_for_warp_size_vIXT0_EEEvE4typeEPKT_PS3_,"axG",@progbits,_Z18warp_reduce_kernelIaLj61ELj100EENSt9enable_ifIXntsr15benchmark_utilsE35device_test_enabled_for_warp_size_vIXT0_EEEvE4typeEPKT_PS3_,comdat
.Lfunc_end26:
	.size	_Z18warp_reduce_kernelIaLj61ELj100EENSt9enable_ifIXntsr15benchmark_utilsE35device_test_enabled_for_warp_size_vIXT0_EEEvE4typeEPKT_PS3_, .Lfunc_end26-_Z18warp_reduce_kernelIaLj61ELj100EENSt9enable_ifIXntsr15benchmark_utilsE35device_test_enabled_for_warp_size_vIXT0_EEEvE4typeEPKT_PS3_
                                        ; -- End function
	.section	.AMDGPU.csdata,"",@progbits
; Kernel info:
; codeLenInByte = 4
; NumSgprs: 0
; NumVgprs: 0
; ScratchSize: 0
; MemoryBound: 0
; FloatMode: 240
; IeeeMode: 1
; LDSByteSize: 0 bytes/workgroup (compile time only)
; SGPRBlocks: 0
; VGPRBlocks: 0
; NumSGPRsForWavesPerEU: 1
; NumVGPRsForWavesPerEU: 1
; Occupancy: 16
; WaveLimiterHint : 0
; COMPUTE_PGM_RSRC2:SCRATCH_EN: 0
; COMPUTE_PGM_RSRC2:USER_SGPR: 15
; COMPUTE_PGM_RSRC2:TRAP_HANDLER: 0
; COMPUTE_PGM_RSRC2:TGID_X_EN: 1
; COMPUTE_PGM_RSRC2:TGID_Y_EN: 0
; COMPUTE_PGM_RSRC2:TGID_Z_EN: 0
; COMPUTE_PGM_RSRC2:TIDIG_COMP_CNT: 0
	.section	.text._Z18warp_reduce_kernelIaLj64ELj100EENSt9enable_ifIXntsr15benchmark_utilsE35device_test_enabled_for_warp_size_vIXT0_EEEvE4typeEPKT_PS3_,"axG",@progbits,_Z18warp_reduce_kernelIaLj64ELj100EENSt9enable_ifIXntsr15benchmark_utilsE35device_test_enabled_for_warp_size_vIXT0_EEEvE4typeEPKT_PS3_,comdat
	.protected	_Z18warp_reduce_kernelIaLj64ELj100EENSt9enable_ifIXntsr15benchmark_utilsE35device_test_enabled_for_warp_size_vIXT0_EEEvE4typeEPKT_PS3_ ; -- Begin function _Z18warp_reduce_kernelIaLj64ELj100EENSt9enable_ifIXntsr15benchmark_utilsE35device_test_enabled_for_warp_size_vIXT0_EEEvE4typeEPKT_PS3_
	.globl	_Z18warp_reduce_kernelIaLj64ELj100EENSt9enable_ifIXntsr15benchmark_utilsE35device_test_enabled_for_warp_size_vIXT0_EEEvE4typeEPKT_PS3_
	.p2align	8
	.type	_Z18warp_reduce_kernelIaLj64ELj100EENSt9enable_ifIXntsr15benchmark_utilsE35device_test_enabled_for_warp_size_vIXT0_EEEvE4typeEPKT_PS3_,@function
_Z18warp_reduce_kernelIaLj64ELj100EENSt9enable_ifIXntsr15benchmark_utilsE35device_test_enabled_for_warp_size_vIXT0_EEEvE4typeEPKT_PS3_: ; @_Z18warp_reduce_kernelIaLj64ELj100EENSt9enable_ifIXntsr15benchmark_utilsE35device_test_enabled_for_warp_size_vIXT0_EEEvE4typeEPKT_PS3_
; %bb.0:
	s_endpgm
	.section	.rodata,"a",@progbits
	.p2align	6, 0x0
	.amdhsa_kernel _Z18warp_reduce_kernelIaLj64ELj100EENSt9enable_ifIXntsr15benchmark_utilsE35device_test_enabled_for_warp_size_vIXT0_EEEvE4typeEPKT_PS3_
		.amdhsa_group_segment_fixed_size 0
		.amdhsa_private_segment_fixed_size 0
		.amdhsa_kernarg_size 16
		.amdhsa_user_sgpr_count 15
		.amdhsa_user_sgpr_dispatch_ptr 0
		.amdhsa_user_sgpr_queue_ptr 0
		.amdhsa_user_sgpr_kernarg_segment_ptr 1
		.amdhsa_user_sgpr_dispatch_id 0
		.amdhsa_user_sgpr_private_segment_size 0
		.amdhsa_wavefront_size32 1
		.amdhsa_uses_dynamic_stack 0
		.amdhsa_enable_private_segment 0
		.amdhsa_system_sgpr_workgroup_id_x 1
		.amdhsa_system_sgpr_workgroup_id_y 0
		.amdhsa_system_sgpr_workgroup_id_z 0
		.amdhsa_system_sgpr_workgroup_info 0
		.amdhsa_system_vgpr_workitem_id 0
		.amdhsa_next_free_vgpr 1
		.amdhsa_next_free_sgpr 1
		.amdhsa_reserve_vcc 0
		.amdhsa_float_round_mode_32 0
		.amdhsa_float_round_mode_16_64 0
		.amdhsa_float_denorm_mode_32 3
		.amdhsa_float_denorm_mode_16_64 3
		.amdhsa_dx10_clamp 1
		.amdhsa_ieee_mode 1
		.amdhsa_fp16_overflow 0
		.amdhsa_workgroup_processor_mode 1
		.amdhsa_memory_ordered 1
		.amdhsa_forward_progress 0
		.amdhsa_shared_vgpr_count 0
		.amdhsa_exception_fp_ieee_invalid_op 0
		.amdhsa_exception_fp_denorm_src 0
		.amdhsa_exception_fp_ieee_div_zero 0
		.amdhsa_exception_fp_ieee_overflow 0
		.amdhsa_exception_fp_ieee_underflow 0
		.amdhsa_exception_fp_ieee_inexact 0
		.amdhsa_exception_int_div_zero 0
	.end_amdhsa_kernel
	.section	.text._Z18warp_reduce_kernelIaLj64ELj100EENSt9enable_ifIXntsr15benchmark_utilsE35device_test_enabled_for_warp_size_vIXT0_EEEvE4typeEPKT_PS3_,"axG",@progbits,_Z18warp_reduce_kernelIaLj64ELj100EENSt9enable_ifIXntsr15benchmark_utilsE35device_test_enabled_for_warp_size_vIXT0_EEEvE4typeEPKT_PS3_,comdat
.Lfunc_end27:
	.size	_Z18warp_reduce_kernelIaLj64ELj100EENSt9enable_ifIXntsr15benchmark_utilsE35device_test_enabled_for_warp_size_vIXT0_EEEvE4typeEPKT_PS3_, .Lfunc_end27-_Z18warp_reduce_kernelIaLj64ELj100EENSt9enable_ifIXntsr15benchmark_utilsE35device_test_enabled_for_warp_size_vIXT0_EEEvE4typeEPKT_PS3_
                                        ; -- End function
	.section	.AMDGPU.csdata,"",@progbits
; Kernel info:
; codeLenInByte = 4
; NumSgprs: 0
; NumVgprs: 0
; ScratchSize: 0
; MemoryBound: 0
; FloatMode: 240
; IeeeMode: 1
; LDSByteSize: 0 bytes/workgroup (compile time only)
; SGPRBlocks: 0
; VGPRBlocks: 0
; NumSGPRsForWavesPerEU: 1
; NumVGPRsForWavesPerEU: 1
; Occupancy: 16
; WaveLimiterHint : 0
; COMPUTE_PGM_RSRC2:SCRATCH_EN: 0
; COMPUTE_PGM_RSRC2:USER_SGPR: 15
; COMPUTE_PGM_RSRC2:TRAP_HANDLER: 0
; COMPUTE_PGM_RSRC2:TGID_X_EN: 1
; COMPUTE_PGM_RSRC2:TGID_Y_EN: 0
; COMPUTE_PGM_RSRC2:TGID_Z_EN: 0
; COMPUTE_PGM_RSRC2:TIDIG_COMP_CNT: 0
	.section	.text._Z18warp_reduce_kernelIhLj15ELj100EENSt9enable_ifIXsr15benchmark_utilsE35device_test_enabled_for_warp_size_vIXT0_EEEvE4typeEPKT_PS3_,"axG",@progbits,_Z18warp_reduce_kernelIhLj15ELj100EENSt9enable_ifIXsr15benchmark_utilsE35device_test_enabled_for_warp_size_vIXT0_EEEvE4typeEPKT_PS3_,comdat
	.protected	_Z18warp_reduce_kernelIhLj15ELj100EENSt9enable_ifIXsr15benchmark_utilsE35device_test_enabled_for_warp_size_vIXT0_EEEvE4typeEPKT_PS3_ ; -- Begin function _Z18warp_reduce_kernelIhLj15ELj100EENSt9enable_ifIXsr15benchmark_utilsE35device_test_enabled_for_warp_size_vIXT0_EEEvE4typeEPKT_PS3_
	.globl	_Z18warp_reduce_kernelIhLj15ELj100EENSt9enable_ifIXsr15benchmark_utilsE35device_test_enabled_for_warp_size_vIXT0_EEEvE4typeEPKT_PS3_
	.p2align	8
	.type	_Z18warp_reduce_kernelIhLj15ELj100EENSt9enable_ifIXsr15benchmark_utilsE35device_test_enabled_for_warp_size_vIXT0_EEEvE4typeEPKT_PS3_,@function
_Z18warp_reduce_kernelIhLj15ELj100EENSt9enable_ifIXsr15benchmark_utilsE35device_test_enabled_for_warp_size_vIXT0_EEEvE4typeEPKT_PS3_: ; @_Z18warp_reduce_kernelIhLj15ELj100EENSt9enable_ifIXsr15benchmark_utilsE35device_test_enabled_for_warp_size_vIXT0_EEEvE4typeEPKT_PS3_
; %bb.0:
	s_clause 0x1
	s_load_b32 s2, s[0:1], 0x1c
	s_load_b128 s[4:7], s[0:1], 0x0
	s_movk_i32 s3, 0x64
	s_waitcnt lgkmcnt(0)
	s_and_b32 s0, s2, 0xffff
	s_delay_alu instid0(SALU_CYCLE_1) | instskip(SKIP_1) | instid1(VALU_DEP_1)
	v_mad_u64_u32 v[1:2], null, s15, s0, v[0:1]
	v_mbcnt_lo_u32_b32 v0, -1, 0
	v_mul_hi_u32 v2, 0x11111112, v0
	global_load_u8 v3, v1, s[4:5]
	v_mul_u32_u24_e32 v2, 15, v2
	s_delay_alu instid0(VALU_DEP_1) | instskip(SKIP_1) | instid1(VALU_DEP_2)
	v_sub_nc_u32_e32 v0, v0, v2
	v_mov_b32_e32 v2, 0
	v_cmp_gt_u32_e32 vcc_lo, 7, v0
	v_cmp_gt_u32_e64 s0, 4, v0
	v_cmp_gt_u32_e64 s1, 2, v0
	v_cmp_eq_u32_e64 s2, 0, v0
	s_branch .LBB28_2
.LBB28_1:                               ;   in Loop: Header=BB28_2 Depth=1
	s_or_b32 exec_lo, exec_lo, s4
	s_add_i32 s3, s3, -1
	s_delay_alu instid0(SALU_CYCLE_1)
	s_cmp_eq_u32 s3, 0
	; wave barrier
	s_cbranch_scc1 .LBB28_18
.LBB28_2:                               ; =>This Inner Loop Header: Depth=1
	s_waitcnt vmcnt(0)
	ds_store_b8 v0, v3
	; wave barrier
	s_and_saveexec_b32 s4, vcc_lo
	s_cbranch_execz .LBB28_4
; %bb.3:                                ;   in Loop: Header=BB28_2 Depth=1
	ds_load_u8 v3, v0
	ds_load_u8 v4, v0 offset:8
	s_waitcnt lgkmcnt(0)
	v_add_nc_u16 v3, v4, v3
.LBB28_4:                               ;   in Loop: Header=BB28_2 Depth=1
	s_or_b32 exec_lo, exec_lo, s4
	; wave barrier
	s_and_saveexec_b32 s4, vcc_lo
	s_cbranch_execz .LBB28_6
; %bb.5:                                ;   in Loop: Header=BB28_2 Depth=1
	ds_store_b8 v0, v3
.LBB28_6:                               ;   in Loop: Header=BB28_2 Depth=1
	s_or_b32 exec_lo, exec_lo, s4
	; wave barrier
	s_and_saveexec_b32 s4, s0
	s_cbranch_execz .LBB28_8
; %bb.7:                                ;   in Loop: Header=BB28_2 Depth=1
	ds_load_u8 v3, v0
	ds_load_u8 v4, v0 offset:4
	s_waitcnt lgkmcnt(0)
	v_add_nc_u16 v3, v4, v3
.LBB28_8:                               ;   in Loop: Header=BB28_2 Depth=1
	s_or_b32 exec_lo, exec_lo, s4
	; wave barrier
	s_and_saveexec_b32 s4, s0
	s_cbranch_execz .LBB28_10
; %bb.9:                                ;   in Loop: Header=BB28_2 Depth=1
	ds_store_b8 v0, v3
.LBB28_10:                              ;   in Loop: Header=BB28_2 Depth=1
	s_or_b32 exec_lo, exec_lo, s4
	; wave barrier
	s_and_saveexec_b32 s4, s1
	s_cbranch_execz .LBB28_12
; %bb.11:                               ;   in Loop: Header=BB28_2 Depth=1
	ds_load_u8 v3, v0
	ds_load_u8 v4, v0 offset:2
	s_waitcnt lgkmcnt(0)
	v_add_nc_u16 v3, v4, v3
.LBB28_12:                              ;   in Loop: Header=BB28_2 Depth=1
	s_or_b32 exec_lo, exec_lo, s4
	; wave barrier
	s_and_saveexec_b32 s4, s1
	s_cbranch_execz .LBB28_14
; %bb.13:                               ;   in Loop: Header=BB28_2 Depth=1
	ds_store_b8 v0, v3
.LBB28_14:                              ;   in Loop: Header=BB28_2 Depth=1
	s_or_b32 exec_lo, exec_lo, s4
	; wave barrier
	s_and_saveexec_b32 s4, s2
	s_cbranch_execz .LBB28_16
; %bb.15:                               ;   in Loop: Header=BB28_2 Depth=1
	ds_load_u8 v3, v0
	ds_load_u8 v4, v2 offset:1
	s_waitcnt lgkmcnt(0)
	v_add_nc_u16 v3, v4, v3
.LBB28_16:                              ;   in Loop: Header=BB28_2 Depth=1
	s_or_b32 exec_lo, exec_lo, s4
	; wave barrier
	s_and_saveexec_b32 s4, s2
	s_cbranch_execz .LBB28_1
; %bb.17:                               ;   in Loop: Header=BB28_2 Depth=1
	ds_store_b8 v0, v3
	s_branch .LBB28_1
.LBB28_18:
	v_add_co_u32 v0, s0, s6, v1
	s_delay_alu instid0(VALU_DEP_1)
	v_add_co_ci_u32_e64 v1, null, s7, 0, s0
	global_store_b8 v[0:1], v3, off
	s_nop 0
	s_sendmsg sendmsg(MSG_DEALLOC_VGPRS)
	s_endpgm
	.section	.rodata,"a",@progbits
	.p2align	6, 0x0
	.amdhsa_kernel _Z18warp_reduce_kernelIhLj15ELj100EENSt9enable_ifIXsr15benchmark_utilsE35device_test_enabled_for_warp_size_vIXT0_EEEvE4typeEPKT_PS3_
		.amdhsa_group_segment_fixed_size 15
		.amdhsa_private_segment_fixed_size 0
		.amdhsa_kernarg_size 272
		.amdhsa_user_sgpr_count 15
		.amdhsa_user_sgpr_dispatch_ptr 0
		.amdhsa_user_sgpr_queue_ptr 0
		.amdhsa_user_sgpr_kernarg_segment_ptr 1
		.amdhsa_user_sgpr_dispatch_id 0
		.amdhsa_user_sgpr_private_segment_size 0
		.amdhsa_wavefront_size32 1
		.amdhsa_uses_dynamic_stack 0
		.amdhsa_enable_private_segment 0
		.amdhsa_system_sgpr_workgroup_id_x 1
		.amdhsa_system_sgpr_workgroup_id_y 0
		.amdhsa_system_sgpr_workgroup_id_z 0
		.amdhsa_system_sgpr_workgroup_info 0
		.amdhsa_system_vgpr_workitem_id 0
		.amdhsa_next_free_vgpr 5
		.amdhsa_next_free_sgpr 16
		.amdhsa_reserve_vcc 1
		.amdhsa_float_round_mode_32 0
		.amdhsa_float_round_mode_16_64 0
		.amdhsa_float_denorm_mode_32 3
		.amdhsa_float_denorm_mode_16_64 3
		.amdhsa_dx10_clamp 1
		.amdhsa_ieee_mode 1
		.amdhsa_fp16_overflow 0
		.amdhsa_workgroup_processor_mode 1
		.amdhsa_memory_ordered 1
		.amdhsa_forward_progress 0
		.amdhsa_shared_vgpr_count 0
		.amdhsa_exception_fp_ieee_invalid_op 0
		.amdhsa_exception_fp_denorm_src 0
		.amdhsa_exception_fp_ieee_div_zero 0
		.amdhsa_exception_fp_ieee_overflow 0
		.amdhsa_exception_fp_ieee_underflow 0
		.amdhsa_exception_fp_ieee_inexact 0
		.amdhsa_exception_int_div_zero 0
	.end_amdhsa_kernel
	.section	.text._Z18warp_reduce_kernelIhLj15ELj100EENSt9enable_ifIXsr15benchmark_utilsE35device_test_enabled_for_warp_size_vIXT0_EEEvE4typeEPKT_PS3_,"axG",@progbits,_Z18warp_reduce_kernelIhLj15ELj100EENSt9enable_ifIXsr15benchmark_utilsE35device_test_enabled_for_warp_size_vIXT0_EEEvE4typeEPKT_PS3_,comdat
.Lfunc_end28:
	.size	_Z18warp_reduce_kernelIhLj15ELj100EENSt9enable_ifIXsr15benchmark_utilsE35device_test_enabled_for_warp_size_vIXT0_EEEvE4typeEPKT_PS3_, .Lfunc_end28-_Z18warp_reduce_kernelIhLj15ELj100EENSt9enable_ifIXsr15benchmark_utilsE35device_test_enabled_for_warp_size_vIXT0_EEEvE4typeEPKT_PS3_
                                        ; -- End function
	.section	.AMDGPU.csdata,"",@progbits
; Kernel info:
; codeLenInByte = 436
; NumSgprs: 18
; NumVgprs: 5
; ScratchSize: 0
; MemoryBound: 0
; FloatMode: 240
; IeeeMode: 1
; LDSByteSize: 15 bytes/workgroup (compile time only)
; SGPRBlocks: 2
; VGPRBlocks: 0
; NumSGPRsForWavesPerEU: 18
; NumVGPRsForWavesPerEU: 5
; Occupancy: 16
; WaveLimiterHint : 0
; COMPUTE_PGM_RSRC2:SCRATCH_EN: 0
; COMPUTE_PGM_RSRC2:USER_SGPR: 15
; COMPUTE_PGM_RSRC2:TRAP_HANDLER: 0
; COMPUTE_PGM_RSRC2:TGID_X_EN: 1
; COMPUTE_PGM_RSRC2:TGID_Y_EN: 0
; COMPUTE_PGM_RSRC2:TGID_Z_EN: 0
; COMPUTE_PGM_RSRC2:TIDIG_COMP_CNT: 0
	.section	.text._Z18warp_reduce_kernelIhLj16ELj100EENSt9enable_ifIXsr15benchmark_utilsE35device_test_enabled_for_warp_size_vIXT0_EEEvE4typeEPKT_PS3_,"axG",@progbits,_Z18warp_reduce_kernelIhLj16ELj100EENSt9enable_ifIXsr15benchmark_utilsE35device_test_enabled_for_warp_size_vIXT0_EEEvE4typeEPKT_PS3_,comdat
	.protected	_Z18warp_reduce_kernelIhLj16ELj100EENSt9enable_ifIXsr15benchmark_utilsE35device_test_enabled_for_warp_size_vIXT0_EEEvE4typeEPKT_PS3_ ; -- Begin function _Z18warp_reduce_kernelIhLj16ELj100EENSt9enable_ifIXsr15benchmark_utilsE35device_test_enabled_for_warp_size_vIXT0_EEEvE4typeEPKT_PS3_
	.globl	_Z18warp_reduce_kernelIhLj16ELj100EENSt9enable_ifIXsr15benchmark_utilsE35device_test_enabled_for_warp_size_vIXT0_EEEvE4typeEPKT_PS3_
	.p2align	8
	.type	_Z18warp_reduce_kernelIhLj16ELj100EENSt9enable_ifIXsr15benchmark_utilsE35device_test_enabled_for_warp_size_vIXT0_EEEvE4typeEPKT_PS3_,@function
_Z18warp_reduce_kernelIhLj16ELj100EENSt9enable_ifIXsr15benchmark_utilsE35device_test_enabled_for_warp_size_vIXT0_EEEvE4typeEPKT_PS3_: ; @_Z18warp_reduce_kernelIhLj16ELj100EENSt9enable_ifIXsr15benchmark_utilsE35device_test_enabled_for_warp_size_vIXT0_EEEvE4typeEPKT_PS3_
; %bb.0:
	s_clause 0x1
	s_load_b32 s4, s[0:1], 0x1c
	s_load_b128 s[0:3], s[0:1], 0x0
	v_mbcnt_lo_u32_b32 v5, -1, 0
	s_waitcnt lgkmcnt(0)
	s_and_b32 s4, s4, 0xffff
	s_delay_alu instid0(SALU_CYCLE_1) | instskip(NEXT) | instid1(VALU_DEP_2)
	v_mad_u64_u32 v[1:2], null, s15, s4, v[0:1]
	v_and_b32_e32 v2, 15, v5
	s_delay_alu instid0(VALU_DEP_1) | instskip(SKIP_4) | instid1(VALU_DEP_2)
	v_cmp_gt_u32_e32 vcc_lo, 14, v2
	global_load_u8 v0, v1, s[0:1]
	s_movk_i32 s0, 0x64
	v_cndmask_b32_e64 v3, 0, 1, vcc_lo
	v_cmp_gt_u32_e32 vcc_lo, 12, v2
	v_lshlrev_b32_e32 v3, 1, v3
	v_cndmask_b32_e64 v4, 0, 1, vcc_lo
	v_cmp_gt_u32_e32 vcc_lo, 8, v2
	s_delay_alu instid0(VALU_DEP_3) | instskip(NEXT) | instid1(VALU_DEP_3)
	v_add_lshl_u32 v3, v3, v5, 2
	v_lshlrev_b32_e32 v4, 2, v4
	v_cndmask_b32_e64 v6, 0, 1, vcc_lo
	v_cmp_ne_u32_e32 vcc_lo, 15, v2
	s_delay_alu instid0(VALU_DEP_3) | instskip(NEXT) | instid1(VALU_DEP_3)
	v_add_lshl_u32 v4, v4, v5, 2
	v_lshlrev_b32_e32 v6, 3, v6
	v_add_co_ci_u32_e32 v2, vcc_lo, 0, v5, vcc_lo
	s_delay_alu instid0(VALU_DEP_2) | instskip(NEXT) | instid1(VALU_DEP_2)
	v_add_lshl_u32 v5, v6, v5, 2
	v_lshlrev_b32_e32 v2, 2, v2
	.p2align	6
.LBB29_1:                               ; =>This Inner Loop Header: Depth=1
	s_waitcnt vmcnt(0)
	s_delay_alu instid0(VALU_DEP_1) | instskip(SKIP_1) | instid1(SALU_CYCLE_1)
	v_and_b32_e32 v6, 0xff, v0
	s_add_i32 s0, s0, -1
	s_cmp_eq_u32 s0, 0
	ds_bpermute_b32 v6, v2, v6
	s_waitcnt lgkmcnt(0)
	v_add_nc_u16 v0, v0, v6
	s_delay_alu instid0(VALU_DEP_1) | instskip(SKIP_3) | instid1(VALU_DEP_1)
	v_and_b32_e32 v6, 0xff, v0
	ds_bpermute_b32 v6, v3, v6
	s_waitcnt lgkmcnt(0)
	v_add_nc_u16 v0, v0, v6
	v_and_b32_e32 v6, 0xff, v0
	ds_bpermute_b32 v6, v4, v6
	s_waitcnt lgkmcnt(0)
	v_add_nc_u16 v0, v0, v6
	s_delay_alu instid0(VALU_DEP_1)
	v_and_b32_e32 v6, 0xff, v0
	ds_bpermute_b32 v6, v5, v6
	s_waitcnt lgkmcnt(0)
	v_add_nc_u16 v0, v0, v6
	s_cbranch_scc0 .LBB29_1
; %bb.2:
	v_add_co_u32 v1, s0, s2, v1
	s_delay_alu instid0(VALU_DEP_1)
	v_add_co_ci_u32_e64 v2, null, s3, 0, s0
	global_store_b8 v[1:2], v0, off
	s_nop 0
	s_sendmsg sendmsg(MSG_DEALLOC_VGPRS)
	s_endpgm
	.section	.rodata,"a",@progbits
	.p2align	6, 0x0
	.amdhsa_kernel _Z18warp_reduce_kernelIhLj16ELj100EENSt9enable_ifIXsr15benchmark_utilsE35device_test_enabled_for_warp_size_vIXT0_EEEvE4typeEPKT_PS3_
		.amdhsa_group_segment_fixed_size 0
		.amdhsa_private_segment_fixed_size 0
		.amdhsa_kernarg_size 272
		.amdhsa_user_sgpr_count 15
		.amdhsa_user_sgpr_dispatch_ptr 0
		.amdhsa_user_sgpr_queue_ptr 0
		.amdhsa_user_sgpr_kernarg_segment_ptr 1
		.amdhsa_user_sgpr_dispatch_id 0
		.amdhsa_user_sgpr_private_segment_size 0
		.amdhsa_wavefront_size32 1
		.amdhsa_uses_dynamic_stack 0
		.amdhsa_enable_private_segment 0
		.amdhsa_system_sgpr_workgroup_id_x 1
		.amdhsa_system_sgpr_workgroup_id_y 0
		.amdhsa_system_sgpr_workgroup_id_z 0
		.amdhsa_system_sgpr_workgroup_info 0
		.amdhsa_system_vgpr_workitem_id 0
		.amdhsa_next_free_vgpr 7
		.amdhsa_next_free_sgpr 16
		.amdhsa_reserve_vcc 1
		.amdhsa_float_round_mode_32 0
		.amdhsa_float_round_mode_16_64 0
		.amdhsa_float_denorm_mode_32 3
		.amdhsa_float_denorm_mode_16_64 3
		.amdhsa_dx10_clamp 1
		.amdhsa_ieee_mode 1
		.amdhsa_fp16_overflow 0
		.amdhsa_workgroup_processor_mode 1
		.amdhsa_memory_ordered 1
		.amdhsa_forward_progress 0
		.amdhsa_shared_vgpr_count 0
		.amdhsa_exception_fp_ieee_invalid_op 0
		.amdhsa_exception_fp_denorm_src 0
		.amdhsa_exception_fp_ieee_div_zero 0
		.amdhsa_exception_fp_ieee_overflow 0
		.amdhsa_exception_fp_ieee_underflow 0
		.amdhsa_exception_fp_ieee_inexact 0
		.amdhsa_exception_int_div_zero 0
	.end_amdhsa_kernel
	.section	.text._Z18warp_reduce_kernelIhLj16ELj100EENSt9enable_ifIXsr15benchmark_utilsE35device_test_enabled_for_warp_size_vIXT0_EEEvE4typeEPKT_PS3_,"axG",@progbits,_Z18warp_reduce_kernelIhLj16ELj100EENSt9enable_ifIXsr15benchmark_utilsE35device_test_enabled_for_warp_size_vIXT0_EEEvE4typeEPKT_PS3_,comdat
.Lfunc_end29:
	.size	_Z18warp_reduce_kernelIhLj16ELj100EENSt9enable_ifIXsr15benchmark_utilsE35device_test_enabled_for_warp_size_vIXT0_EEEvE4typeEPKT_PS3_, .Lfunc_end29-_Z18warp_reduce_kernelIhLj16ELj100EENSt9enable_ifIXsr15benchmark_utilsE35device_test_enabled_for_warp_size_vIXT0_EEEvE4typeEPKT_PS3_
                                        ; -- End function
	.section	.AMDGPU.csdata,"",@progbits
; Kernel info:
; codeLenInByte = 348
; NumSgprs: 18
; NumVgprs: 7
; ScratchSize: 0
; MemoryBound: 0
; FloatMode: 240
; IeeeMode: 1
; LDSByteSize: 0 bytes/workgroup (compile time only)
; SGPRBlocks: 2
; VGPRBlocks: 0
; NumSGPRsForWavesPerEU: 18
; NumVGPRsForWavesPerEU: 7
; Occupancy: 16
; WaveLimiterHint : 0
; COMPUTE_PGM_RSRC2:SCRATCH_EN: 0
; COMPUTE_PGM_RSRC2:USER_SGPR: 15
; COMPUTE_PGM_RSRC2:TRAP_HANDLER: 0
; COMPUTE_PGM_RSRC2:TGID_X_EN: 1
; COMPUTE_PGM_RSRC2:TGID_Y_EN: 0
; COMPUTE_PGM_RSRC2:TGID_Z_EN: 0
; COMPUTE_PGM_RSRC2:TIDIG_COMP_CNT: 0
	.section	.text._Z18warp_reduce_kernelIhLj31ELj100EENSt9enable_ifIXsr15benchmark_utilsE35device_test_enabled_for_warp_size_vIXT0_EEEvE4typeEPKT_PS3_,"axG",@progbits,_Z18warp_reduce_kernelIhLj31ELj100EENSt9enable_ifIXsr15benchmark_utilsE35device_test_enabled_for_warp_size_vIXT0_EEEvE4typeEPKT_PS3_,comdat
	.protected	_Z18warp_reduce_kernelIhLj31ELj100EENSt9enable_ifIXsr15benchmark_utilsE35device_test_enabled_for_warp_size_vIXT0_EEEvE4typeEPKT_PS3_ ; -- Begin function _Z18warp_reduce_kernelIhLj31ELj100EENSt9enable_ifIXsr15benchmark_utilsE35device_test_enabled_for_warp_size_vIXT0_EEEvE4typeEPKT_PS3_
	.globl	_Z18warp_reduce_kernelIhLj31ELj100EENSt9enable_ifIXsr15benchmark_utilsE35device_test_enabled_for_warp_size_vIXT0_EEEvE4typeEPKT_PS3_
	.p2align	8
	.type	_Z18warp_reduce_kernelIhLj31ELj100EENSt9enable_ifIXsr15benchmark_utilsE35device_test_enabled_for_warp_size_vIXT0_EEEvE4typeEPKT_PS3_,@function
_Z18warp_reduce_kernelIhLj31ELj100EENSt9enable_ifIXsr15benchmark_utilsE35device_test_enabled_for_warp_size_vIXT0_EEEvE4typeEPKT_PS3_: ; @_Z18warp_reduce_kernelIhLj31ELj100EENSt9enable_ifIXsr15benchmark_utilsE35device_test_enabled_for_warp_size_vIXT0_EEEvE4typeEPKT_PS3_
; %bb.0:
	s_clause 0x1
	s_load_b32 s2, s[0:1], 0x1c
	s_load_b128 s[4:7], s[0:1], 0x0
	s_waitcnt lgkmcnt(0)
	s_and_b32 s0, s2, 0xffff
	s_delay_alu instid0(SALU_CYCLE_1) | instskip(SKIP_1) | instid1(VALU_DEP_1)
	v_mad_u64_u32 v[1:2], null, s15, s0, v[0:1]
	v_mbcnt_lo_u32_b32 v0, -1, 0
	v_mul_hi_u32 v2, 0x8421085, v0
	global_load_u8 v3, v1, s[4:5]
	s_movk_i32 s4, 0x64
	v_mul_u32_u24_e32 v2, 31, v2
	s_delay_alu instid0(VALU_DEP_1) | instskip(SKIP_1) | instid1(VALU_DEP_2)
	v_sub_nc_u32_e32 v0, v0, v2
	v_mov_b32_e32 v2, 0
	v_cmp_gt_u32_e32 vcc_lo, 15, v0
	v_cmp_gt_u32_e64 s0, 8, v0
	v_cmp_gt_u32_e64 s1, 4, v0
	;; [unrolled: 1-line block ×3, first 2 shown]
	v_cmp_eq_u32_e64 s3, 0, v0
	s_branch .LBB30_2
.LBB30_1:                               ;   in Loop: Header=BB30_2 Depth=1
	s_or_b32 exec_lo, exec_lo, s5
	s_add_i32 s4, s4, -1
	s_delay_alu instid0(SALU_CYCLE_1)
	s_cmp_eq_u32 s4, 0
	; wave barrier
	s_cbranch_scc1 .LBB30_22
.LBB30_2:                               ; =>This Inner Loop Header: Depth=1
	s_waitcnt vmcnt(0)
	ds_store_b8 v0, v3
	; wave barrier
	s_and_saveexec_b32 s5, vcc_lo
	s_cbranch_execz .LBB30_4
; %bb.3:                                ;   in Loop: Header=BB30_2 Depth=1
	ds_load_u8 v3, v0
	ds_load_u8 v4, v0 offset:16
	s_waitcnt lgkmcnt(0)
	v_add_nc_u16 v3, v4, v3
.LBB30_4:                               ;   in Loop: Header=BB30_2 Depth=1
	s_or_b32 exec_lo, exec_lo, s5
	; wave barrier
	s_and_saveexec_b32 s5, vcc_lo
	s_cbranch_execz .LBB30_6
; %bb.5:                                ;   in Loop: Header=BB30_2 Depth=1
	ds_store_b8 v0, v3
.LBB30_6:                               ;   in Loop: Header=BB30_2 Depth=1
	s_or_b32 exec_lo, exec_lo, s5
	; wave barrier
	s_and_saveexec_b32 s5, s0
	s_cbranch_execz .LBB30_8
; %bb.7:                                ;   in Loop: Header=BB30_2 Depth=1
	ds_load_u8 v3, v0
	ds_load_u8 v4, v0 offset:8
	s_waitcnt lgkmcnt(0)
	v_add_nc_u16 v3, v4, v3
.LBB30_8:                               ;   in Loop: Header=BB30_2 Depth=1
	s_or_b32 exec_lo, exec_lo, s5
	; wave barrier
	s_and_saveexec_b32 s5, s0
	s_cbranch_execz .LBB30_10
; %bb.9:                                ;   in Loop: Header=BB30_2 Depth=1
	ds_store_b8 v0, v3
.LBB30_10:                              ;   in Loop: Header=BB30_2 Depth=1
	s_or_b32 exec_lo, exec_lo, s5
	; wave barrier
	s_and_saveexec_b32 s5, s1
	s_cbranch_execz .LBB30_12
; %bb.11:                               ;   in Loop: Header=BB30_2 Depth=1
	ds_load_u8 v3, v0
	ds_load_u8 v4, v0 offset:4
	s_waitcnt lgkmcnt(0)
	v_add_nc_u16 v3, v4, v3
.LBB30_12:                              ;   in Loop: Header=BB30_2 Depth=1
	s_or_b32 exec_lo, exec_lo, s5
	; wave barrier
	s_and_saveexec_b32 s5, s1
	s_cbranch_execz .LBB30_14
; %bb.13:                               ;   in Loop: Header=BB30_2 Depth=1
	ds_store_b8 v0, v3
.LBB30_14:                              ;   in Loop: Header=BB30_2 Depth=1
	s_or_b32 exec_lo, exec_lo, s5
	; wave barrier
	s_and_saveexec_b32 s5, s2
	s_cbranch_execz .LBB30_16
; %bb.15:                               ;   in Loop: Header=BB30_2 Depth=1
	ds_load_u8 v3, v0
	ds_load_u8 v4, v0 offset:2
	s_waitcnt lgkmcnt(0)
	v_add_nc_u16 v3, v4, v3
.LBB30_16:                              ;   in Loop: Header=BB30_2 Depth=1
	s_or_b32 exec_lo, exec_lo, s5
	; wave barrier
	s_and_saveexec_b32 s5, s2
	s_cbranch_execz .LBB30_18
; %bb.17:                               ;   in Loop: Header=BB30_2 Depth=1
	ds_store_b8 v0, v3
.LBB30_18:                              ;   in Loop: Header=BB30_2 Depth=1
	s_or_b32 exec_lo, exec_lo, s5
	; wave barrier
	s_and_saveexec_b32 s5, s3
	s_cbranch_execz .LBB30_20
; %bb.19:                               ;   in Loop: Header=BB30_2 Depth=1
	ds_load_u8 v3, v0
	ds_load_u8 v4, v2 offset:1
	s_waitcnt lgkmcnt(0)
	v_add_nc_u16 v3, v4, v3
.LBB30_20:                              ;   in Loop: Header=BB30_2 Depth=1
	s_or_b32 exec_lo, exec_lo, s5
	; wave barrier
	s_and_saveexec_b32 s5, s3
	s_cbranch_execz .LBB30_1
; %bb.21:                               ;   in Loop: Header=BB30_2 Depth=1
	ds_store_b8 v0, v3
	s_branch .LBB30_1
.LBB30_22:
	v_add_co_u32 v0, s0, s6, v1
	s_delay_alu instid0(VALU_DEP_1)
	v_add_co_ci_u32_e64 v1, null, s7, 0, s0
	global_store_b8 v[0:1], v3, off
	s_nop 0
	s_sendmsg sendmsg(MSG_DEALLOC_VGPRS)
	s_endpgm
	.section	.rodata,"a",@progbits
	.p2align	6, 0x0
	.amdhsa_kernel _Z18warp_reduce_kernelIhLj31ELj100EENSt9enable_ifIXsr15benchmark_utilsE35device_test_enabled_for_warp_size_vIXT0_EEEvE4typeEPKT_PS3_
		.amdhsa_group_segment_fixed_size 31
		.amdhsa_private_segment_fixed_size 0
		.amdhsa_kernarg_size 272
		.amdhsa_user_sgpr_count 15
		.amdhsa_user_sgpr_dispatch_ptr 0
		.amdhsa_user_sgpr_queue_ptr 0
		.amdhsa_user_sgpr_kernarg_segment_ptr 1
		.amdhsa_user_sgpr_dispatch_id 0
		.amdhsa_user_sgpr_private_segment_size 0
		.amdhsa_wavefront_size32 1
		.amdhsa_uses_dynamic_stack 0
		.amdhsa_enable_private_segment 0
		.amdhsa_system_sgpr_workgroup_id_x 1
		.amdhsa_system_sgpr_workgroup_id_y 0
		.amdhsa_system_sgpr_workgroup_id_z 0
		.amdhsa_system_sgpr_workgroup_info 0
		.amdhsa_system_vgpr_workitem_id 0
		.amdhsa_next_free_vgpr 5
		.amdhsa_next_free_sgpr 16
		.amdhsa_reserve_vcc 1
		.amdhsa_float_round_mode_32 0
		.amdhsa_float_round_mode_16_64 0
		.amdhsa_float_denorm_mode_32 3
		.amdhsa_float_denorm_mode_16_64 3
		.amdhsa_dx10_clamp 1
		.amdhsa_ieee_mode 1
		.amdhsa_fp16_overflow 0
		.amdhsa_workgroup_processor_mode 1
		.amdhsa_memory_ordered 1
		.amdhsa_forward_progress 0
		.amdhsa_shared_vgpr_count 0
		.amdhsa_exception_fp_ieee_invalid_op 0
		.amdhsa_exception_fp_denorm_src 0
		.amdhsa_exception_fp_ieee_div_zero 0
		.amdhsa_exception_fp_ieee_overflow 0
		.amdhsa_exception_fp_ieee_underflow 0
		.amdhsa_exception_fp_ieee_inexact 0
		.amdhsa_exception_int_div_zero 0
	.end_amdhsa_kernel
	.section	.text._Z18warp_reduce_kernelIhLj31ELj100EENSt9enable_ifIXsr15benchmark_utilsE35device_test_enabled_for_warp_size_vIXT0_EEEvE4typeEPKT_PS3_,"axG",@progbits,_Z18warp_reduce_kernelIhLj31ELj100EENSt9enable_ifIXsr15benchmark_utilsE35device_test_enabled_for_warp_size_vIXT0_EEEvE4typeEPKT_PS3_,comdat
.Lfunc_end30:
	.size	_Z18warp_reduce_kernelIhLj31ELj100EENSt9enable_ifIXsr15benchmark_utilsE35device_test_enabled_for_warp_size_vIXT0_EEEvE4typeEPKT_PS3_, .Lfunc_end30-_Z18warp_reduce_kernelIhLj31ELj100EENSt9enable_ifIXsr15benchmark_utilsE35device_test_enabled_for_warp_size_vIXT0_EEEvE4typeEPKT_PS3_
                                        ; -- End function
	.section	.AMDGPU.csdata,"",@progbits
; Kernel info:
; codeLenInByte = 504
; NumSgprs: 18
; NumVgprs: 5
; ScratchSize: 0
; MemoryBound: 0
; FloatMode: 240
; IeeeMode: 1
; LDSByteSize: 31 bytes/workgroup (compile time only)
; SGPRBlocks: 2
; VGPRBlocks: 0
; NumSGPRsForWavesPerEU: 18
; NumVGPRsForWavesPerEU: 5
; Occupancy: 16
; WaveLimiterHint : 0
; COMPUTE_PGM_RSRC2:SCRATCH_EN: 0
; COMPUTE_PGM_RSRC2:USER_SGPR: 15
; COMPUTE_PGM_RSRC2:TRAP_HANDLER: 0
; COMPUTE_PGM_RSRC2:TGID_X_EN: 1
; COMPUTE_PGM_RSRC2:TGID_Y_EN: 0
; COMPUTE_PGM_RSRC2:TGID_Z_EN: 0
; COMPUTE_PGM_RSRC2:TIDIG_COMP_CNT: 0
	.section	.text._Z18warp_reduce_kernelIhLj32ELj100EENSt9enable_ifIXsr15benchmark_utilsE35device_test_enabled_for_warp_size_vIXT0_EEEvE4typeEPKT_PS3_,"axG",@progbits,_Z18warp_reduce_kernelIhLj32ELj100EENSt9enable_ifIXsr15benchmark_utilsE35device_test_enabled_for_warp_size_vIXT0_EEEvE4typeEPKT_PS3_,comdat
	.protected	_Z18warp_reduce_kernelIhLj32ELj100EENSt9enable_ifIXsr15benchmark_utilsE35device_test_enabled_for_warp_size_vIXT0_EEEvE4typeEPKT_PS3_ ; -- Begin function _Z18warp_reduce_kernelIhLj32ELj100EENSt9enable_ifIXsr15benchmark_utilsE35device_test_enabled_for_warp_size_vIXT0_EEEvE4typeEPKT_PS3_
	.globl	_Z18warp_reduce_kernelIhLj32ELj100EENSt9enable_ifIXsr15benchmark_utilsE35device_test_enabled_for_warp_size_vIXT0_EEEvE4typeEPKT_PS3_
	.p2align	8
	.type	_Z18warp_reduce_kernelIhLj32ELj100EENSt9enable_ifIXsr15benchmark_utilsE35device_test_enabled_for_warp_size_vIXT0_EEEvE4typeEPKT_PS3_,@function
_Z18warp_reduce_kernelIhLj32ELj100EENSt9enable_ifIXsr15benchmark_utilsE35device_test_enabled_for_warp_size_vIXT0_EEEvE4typeEPKT_PS3_: ; @_Z18warp_reduce_kernelIhLj32ELj100EENSt9enable_ifIXsr15benchmark_utilsE35device_test_enabled_for_warp_size_vIXT0_EEEvE4typeEPKT_PS3_
; %bb.0:
	s_clause 0x1
	s_load_b32 s4, s[0:1], 0x1c
	s_load_b128 s[0:3], s[0:1], 0x0
	s_waitcnt lgkmcnt(0)
	s_and_b32 s4, s4, 0xffff
	s_delay_alu instid0(SALU_CYCLE_1)
	v_mad_u64_u32 v[1:2], null, s15, s4, v[0:1]
	v_mov_b32_e32 v0, 0x7c
	global_load_u8 v2, v1, s[0:1]
	s_movk_i32 s0, 0x64
	s_set_inst_prefetch_distance 0x1
	.p2align	6
.LBB31_1:                               ; =>This Inner Loop Header: Depth=1
	s_waitcnt vmcnt(0) lgkmcnt(0)
	v_and_b32_e32 v3, 0xff, v2
	s_add_i32 s0, s0, -1
	s_delay_alu instid0(SALU_CYCLE_1) | instskip(NEXT) | instid1(VALU_DEP_1)
	s_cmp_eq_u32 s0, 0
	v_mov_b32_dpp v3, v3 quad_perm:[1,0,3,2] row_mask:0xf bank_mask:0xf
	s_delay_alu instid0(VALU_DEP_1) | instskip(NEXT) | instid1(VALU_DEP_1)
	v_add_nc_u16 v2, v2, v3
	v_and_b32_e32 v3, 0xff, v2
	s_delay_alu instid0(VALU_DEP_1) | instskip(NEXT) | instid1(VALU_DEP_1)
	v_mov_b32_dpp v3, v3 quad_perm:[2,3,0,1] row_mask:0xf bank_mask:0xf
	v_add_nc_u16 v2, v2, v3
	s_delay_alu instid0(VALU_DEP_1) | instskip(NEXT) | instid1(VALU_DEP_1)
	v_and_b32_e32 v3, 0xff, v2
	v_mov_b32_dpp v3, v3 row_ror:4 row_mask:0xf bank_mask:0xf
	s_delay_alu instid0(VALU_DEP_1) | instskip(NEXT) | instid1(VALU_DEP_1)
	v_add_nc_u16 v2, v2, v3
	v_and_b32_e32 v3, 0xff, v2
	s_delay_alu instid0(VALU_DEP_1) | instskip(NEXT) | instid1(VALU_DEP_1)
	v_mov_b32_dpp v3, v3 row_ror:8 row_mask:0xf bank_mask:0xf
	v_add_nc_u16 v2, v2, v3
	s_delay_alu instid0(VALU_DEP_1) | instskip(SKIP_3) | instid1(VALU_DEP_1)
	v_and_b32_e32 v3, 0xff, v2
	ds_swizzle_b32 v3, v3 offset:swizzle(BROADCAST,32,15)
	s_waitcnt lgkmcnt(0)
	v_add_nc_u16 v2, v2, v3
	v_and_b32_e32 v2, 0xff, v2
	ds_bpermute_b32 v2, v0, v2
	s_cbranch_scc0 .LBB31_1
; %bb.2:
	s_set_inst_prefetch_distance 0x2
	v_add_co_u32 v0, s0, s2, v1
	s_delay_alu instid0(VALU_DEP_1)
	v_add_co_ci_u32_e64 v1, null, s3, 0, s0
	s_waitcnt lgkmcnt(0)
	global_store_b8 v[0:1], v2, off
	s_nop 0
	s_sendmsg sendmsg(MSG_DEALLOC_VGPRS)
	s_endpgm
	.section	.rodata,"a",@progbits
	.p2align	6, 0x0
	.amdhsa_kernel _Z18warp_reduce_kernelIhLj32ELj100EENSt9enable_ifIXsr15benchmark_utilsE35device_test_enabled_for_warp_size_vIXT0_EEEvE4typeEPKT_PS3_
		.amdhsa_group_segment_fixed_size 0
		.amdhsa_private_segment_fixed_size 0
		.amdhsa_kernarg_size 272
		.amdhsa_user_sgpr_count 15
		.amdhsa_user_sgpr_dispatch_ptr 0
		.amdhsa_user_sgpr_queue_ptr 0
		.amdhsa_user_sgpr_kernarg_segment_ptr 1
		.amdhsa_user_sgpr_dispatch_id 0
		.amdhsa_user_sgpr_private_segment_size 0
		.amdhsa_wavefront_size32 1
		.amdhsa_uses_dynamic_stack 0
		.amdhsa_enable_private_segment 0
		.amdhsa_system_sgpr_workgroup_id_x 1
		.amdhsa_system_sgpr_workgroup_id_y 0
		.amdhsa_system_sgpr_workgroup_id_z 0
		.amdhsa_system_sgpr_workgroup_info 0
		.amdhsa_system_vgpr_workitem_id 0
		.amdhsa_next_free_vgpr 4
		.amdhsa_next_free_sgpr 16
		.amdhsa_reserve_vcc 0
		.amdhsa_float_round_mode_32 0
		.amdhsa_float_round_mode_16_64 0
		.amdhsa_float_denorm_mode_32 3
		.amdhsa_float_denorm_mode_16_64 3
		.amdhsa_dx10_clamp 1
		.amdhsa_ieee_mode 1
		.amdhsa_fp16_overflow 0
		.amdhsa_workgroup_processor_mode 1
		.amdhsa_memory_ordered 1
		.amdhsa_forward_progress 0
		.amdhsa_shared_vgpr_count 0
		.amdhsa_exception_fp_ieee_invalid_op 0
		.amdhsa_exception_fp_denorm_src 0
		.amdhsa_exception_fp_ieee_div_zero 0
		.amdhsa_exception_fp_ieee_overflow 0
		.amdhsa_exception_fp_ieee_underflow 0
		.amdhsa_exception_fp_ieee_inexact 0
		.amdhsa_exception_int_div_zero 0
	.end_amdhsa_kernel
	.section	.text._Z18warp_reduce_kernelIhLj32ELj100EENSt9enable_ifIXsr15benchmark_utilsE35device_test_enabled_for_warp_size_vIXT0_EEEvE4typeEPKT_PS3_,"axG",@progbits,_Z18warp_reduce_kernelIhLj32ELj100EENSt9enable_ifIXsr15benchmark_utilsE35device_test_enabled_for_warp_size_vIXT0_EEEvE4typeEPKT_PS3_,comdat
.Lfunc_end31:
	.size	_Z18warp_reduce_kernelIhLj32ELj100EENSt9enable_ifIXsr15benchmark_utilsE35device_test_enabled_for_warp_size_vIXT0_EEEvE4typeEPKT_PS3_, .Lfunc_end31-_Z18warp_reduce_kernelIhLj32ELj100EENSt9enable_ifIXsr15benchmark_utilsE35device_test_enabled_for_warp_size_vIXT0_EEEvE4typeEPKT_PS3_
                                        ; -- End function
	.section	.AMDGPU.csdata,"",@progbits
; Kernel info:
; codeLenInByte = 300
; NumSgprs: 16
; NumVgprs: 4
; ScratchSize: 0
; MemoryBound: 0
; FloatMode: 240
; IeeeMode: 1
; LDSByteSize: 0 bytes/workgroup (compile time only)
; SGPRBlocks: 1
; VGPRBlocks: 0
; NumSGPRsForWavesPerEU: 16
; NumVGPRsForWavesPerEU: 4
; Occupancy: 16
; WaveLimiterHint : 0
; COMPUTE_PGM_RSRC2:SCRATCH_EN: 0
; COMPUTE_PGM_RSRC2:USER_SGPR: 15
; COMPUTE_PGM_RSRC2:TRAP_HANDLER: 0
; COMPUTE_PGM_RSRC2:TGID_X_EN: 1
; COMPUTE_PGM_RSRC2:TGID_Y_EN: 0
; COMPUTE_PGM_RSRC2:TGID_Z_EN: 0
; COMPUTE_PGM_RSRC2:TIDIG_COMP_CNT: 0
	.section	.text._Z18warp_reduce_kernelIhLj37ELj100EENSt9enable_ifIXntsr15benchmark_utilsE35device_test_enabled_for_warp_size_vIXT0_EEEvE4typeEPKT_PS3_,"axG",@progbits,_Z18warp_reduce_kernelIhLj37ELj100EENSt9enable_ifIXntsr15benchmark_utilsE35device_test_enabled_for_warp_size_vIXT0_EEEvE4typeEPKT_PS3_,comdat
	.protected	_Z18warp_reduce_kernelIhLj37ELj100EENSt9enable_ifIXntsr15benchmark_utilsE35device_test_enabled_for_warp_size_vIXT0_EEEvE4typeEPKT_PS3_ ; -- Begin function _Z18warp_reduce_kernelIhLj37ELj100EENSt9enable_ifIXntsr15benchmark_utilsE35device_test_enabled_for_warp_size_vIXT0_EEEvE4typeEPKT_PS3_
	.globl	_Z18warp_reduce_kernelIhLj37ELj100EENSt9enable_ifIXntsr15benchmark_utilsE35device_test_enabled_for_warp_size_vIXT0_EEEvE4typeEPKT_PS3_
	.p2align	8
	.type	_Z18warp_reduce_kernelIhLj37ELj100EENSt9enable_ifIXntsr15benchmark_utilsE35device_test_enabled_for_warp_size_vIXT0_EEEvE4typeEPKT_PS3_,@function
_Z18warp_reduce_kernelIhLj37ELj100EENSt9enable_ifIXntsr15benchmark_utilsE35device_test_enabled_for_warp_size_vIXT0_EEEvE4typeEPKT_PS3_: ; @_Z18warp_reduce_kernelIhLj37ELj100EENSt9enable_ifIXntsr15benchmark_utilsE35device_test_enabled_for_warp_size_vIXT0_EEEvE4typeEPKT_PS3_
; %bb.0:
	s_endpgm
	.section	.rodata,"a",@progbits
	.p2align	6, 0x0
	.amdhsa_kernel _Z18warp_reduce_kernelIhLj37ELj100EENSt9enable_ifIXntsr15benchmark_utilsE35device_test_enabled_for_warp_size_vIXT0_EEEvE4typeEPKT_PS3_
		.amdhsa_group_segment_fixed_size 0
		.amdhsa_private_segment_fixed_size 0
		.amdhsa_kernarg_size 16
		.amdhsa_user_sgpr_count 15
		.amdhsa_user_sgpr_dispatch_ptr 0
		.amdhsa_user_sgpr_queue_ptr 0
		.amdhsa_user_sgpr_kernarg_segment_ptr 1
		.amdhsa_user_sgpr_dispatch_id 0
		.amdhsa_user_sgpr_private_segment_size 0
		.amdhsa_wavefront_size32 1
		.amdhsa_uses_dynamic_stack 0
		.amdhsa_enable_private_segment 0
		.amdhsa_system_sgpr_workgroup_id_x 1
		.amdhsa_system_sgpr_workgroup_id_y 0
		.amdhsa_system_sgpr_workgroup_id_z 0
		.amdhsa_system_sgpr_workgroup_info 0
		.amdhsa_system_vgpr_workitem_id 0
		.amdhsa_next_free_vgpr 1
		.amdhsa_next_free_sgpr 1
		.amdhsa_reserve_vcc 0
		.amdhsa_float_round_mode_32 0
		.amdhsa_float_round_mode_16_64 0
		.amdhsa_float_denorm_mode_32 3
		.amdhsa_float_denorm_mode_16_64 3
		.amdhsa_dx10_clamp 1
		.amdhsa_ieee_mode 1
		.amdhsa_fp16_overflow 0
		.amdhsa_workgroup_processor_mode 1
		.amdhsa_memory_ordered 1
		.amdhsa_forward_progress 0
		.amdhsa_shared_vgpr_count 0
		.amdhsa_exception_fp_ieee_invalid_op 0
		.amdhsa_exception_fp_denorm_src 0
		.amdhsa_exception_fp_ieee_div_zero 0
		.amdhsa_exception_fp_ieee_overflow 0
		.amdhsa_exception_fp_ieee_underflow 0
		.amdhsa_exception_fp_ieee_inexact 0
		.amdhsa_exception_int_div_zero 0
	.end_amdhsa_kernel
	.section	.text._Z18warp_reduce_kernelIhLj37ELj100EENSt9enable_ifIXntsr15benchmark_utilsE35device_test_enabled_for_warp_size_vIXT0_EEEvE4typeEPKT_PS3_,"axG",@progbits,_Z18warp_reduce_kernelIhLj37ELj100EENSt9enable_ifIXntsr15benchmark_utilsE35device_test_enabled_for_warp_size_vIXT0_EEEvE4typeEPKT_PS3_,comdat
.Lfunc_end32:
	.size	_Z18warp_reduce_kernelIhLj37ELj100EENSt9enable_ifIXntsr15benchmark_utilsE35device_test_enabled_for_warp_size_vIXT0_EEEvE4typeEPKT_PS3_, .Lfunc_end32-_Z18warp_reduce_kernelIhLj37ELj100EENSt9enable_ifIXntsr15benchmark_utilsE35device_test_enabled_for_warp_size_vIXT0_EEEvE4typeEPKT_PS3_
                                        ; -- End function
	.section	.AMDGPU.csdata,"",@progbits
; Kernel info:
; codeLenInByte = 4
; NumSgprs: 0
; NumVgprs: 0
; ScratchSize: 0
; MemoryBound: 0
; FloatMode: 240
; IeeeMode: 1
; LDSByteSize: 0 bytes/workgroup (compile time only)
; SGPRBlocks: 0
; VGPRBlocks: 0
; NumSGPRsForWavesPerEU: 1
; NumVGPRsForWavesPerEU: 1
; Occupancy: 16
; WaveLimiterHint : 0
; COMPUTE_PGM_RSRC2:SCRATCH_EN: 0
; COMPUTE_PGM_RSRC2:USER_SGPR: 15
; COMPUTE_PGM_RSRC2:TRAP_HANDLER: 0
; COMPUTE_PGM_RSRC2:TGID_X_EN: 1
; COMPUTE_PGM_RSRC2:TGID_Y_EN: 0
; COMPUTE_PGM_RSRC2:TGID_Z_EN: 0
; COMPUTE_PGM_RSRC2:TIDIG_COMP_CNT: 0
	.section	.text._Z18warp_reduce_kernelIhLj61ELj100EENSt9enable_ifIXntsr15benchmark_utilsE35device_test_enabled_for_warp_size_vIXT0_EEEvE4typeEPKT_PS3_,"axG",@progbits,_Z18warp_reduce_kernelIhLj61ELj100EENSt9enable_ifIXntsr15benchmark_utilsE35device_test_enabled_for_warp_size_vIXT0_EEEvE4typeEPKT_PS3_,comdat
	.protected	_Z18warp_reduce_kernelIhLj61ELj100EENSt9enable_ifIXntsr15benchmark_utilsE35device_test_enabled_for_warp_size_vIXT0_EEEvE4typeEPKT_PS3_ ; -- Begin function _Z18warp_reduce_kernelIhLj61ELj100EENSt9enable_ifIXntsr15benchmark_utilsE35device_test_enabled_for_warp_size_vIXT0_EEEvE4typeEPKT_PS3_
	.globl	_Z18warp_reduce_kernelIhLj61ELj100EENSt9enable_ifIXntsr15benchmark_utilsE35device_test_enabled_for_warp_size_vIXT0_EEEvE4typeEPKT_PS3_
	.p2align	8
	.type	_Z18warp_reduce_kernelIhLj61ELj100EENSt9enable_ifIXntsr15benchmark_utilsE35device_test_enabled_for_warp_size_vIXT0_EEEvE4typeEPKT_PS3_,@function
_Z18warp_reduce_kernelIhLj61ELj100EENSt9enable_ifIXntsr15benchmark_utilsE35device_test_enabled_for_warp_size_vIXT0_EEEvE4typeEPKT_PS3_: ; @_Z18warp_reduce_kernelIhLj61ELj100EENSt9enable_ifIXntsr15benchmark_utilsE35device_test_enabled_for_warp_size_vIXT0_EEEvE4typeEPKT_PS3_
; %bb.0:
	s_endpgm
	.section	.rodata,"a",@progbits
	.p2align	6, 0x0
	.amdhsa_kernel _Z18warp_reduce_kernelIhLj61ELj100EENSt9enable_ifIXntsr15benchmark_utilsE35device_test_enabled_for_warp_size_vIXT0_EEEvE4typeEPKT_PS3_
		.amdhsa_group_segment_fixed_size 0
		.amdhsa_private_segment_fixed_size 0
		.amdhsa_kernarg_size 16
		.amdhsa_user_sgpr_count 15
		.amdhsa_user_sgpr_dispatch_ptr 0
		.amdhsa_user_sgpr_queue_ptr 0
		.amdhsa_user_sgpr_kernarg_segment_ptr 1
		.amdhsa_user_sgpr_dispatch_id 0
		.amdhsa_user_sgpr_private_segment_size 0
		.amdhsa_wavefront_size32 1
		.amdhsa_uses_dynamic_stack 0
		.amdhsa_enable_private_segment 0
		.amdhsa_system_sgpr_workgroup_id_x 1
		.amdhsa_system_sgpr_workgroup_id_y 0
		.amdhsa_system_sgpr_workgroup_id_z 0
		.amdhsa_system_sgpr_workgroup_info 0
		.amdhsa_system_vgpr_workitem_id 0
		.amdhsa_next_free_vgpr 1
		.amdhsa_next_free_sgpr 1
		.amdhsa_reserve_vcc 0
		.amdhsa_float_round_mode_32 0
		.amdhsa_float_round_mode_16_64 0
		.amdhsa_float_denorm_mode_32 3
		.amdhsa_float_denorm_mode_16_64 3
		.amdhsa_dx10_clamp 1
		.amdhsa_ieee_mode 1
		.amdhsa_fp16_overflow 0
		.amdhsa_workgroup_processor_mode 1
		.amdhsa_memory_ordered 1
		.amdhsa_forward_progress 0
		.amdhsa_shared_vgpr_count 0
		.amdhsa_exception_fp_ieee_invalid_op 0
		.amdhsa_exception_fp_denorm_src 0
		.amdhsa_exception_fp_ieee_div_zero 0
		.amdhsa_exception_fp_ieee_overflow 0
		.amdhsa_exception_fp_ieee_underflow 0
		.amdhsa_exception_fp_ieee_inexact 0
		.amdhsa_exception_int_div_zero 0
	.end_amdhsa_kernel
	.section	.text._Z18warp_reduce_kernelIhLj61ELj100EENSt9enable_ifIXntsr15benchmark_utilsE35device_test_enabled_for_warp_size_vIXT0_EEEvE4typeEPKT_PS3_,"axG",@progbits,_Z18warp_reduce_kernelIhLj61ELj100EENSt9enable_ifIXntsr15benchmark_utilsE35device_test_enabled_for_warp_size_vIXT0_EEEvE4typeEPKT_PS3_,comdat
.Lfunc_end33:
	.size	_Z18warp_reduce_kernelIhLj61ELj100EENSt9enable_ifIXntsr15benchmark_utilsE35device_test_enabled_for_warp_size_vIXT0_EEEvE4typeEPKT_PS3_, .Lfunc_end33-_Z18warp_reduce_kernelIhLj61ELj100EENSt9enable_ifIXntsr15benchmark_utilsE35device_test_enabled_for_warp_size_vIXT0_EEEvE4typeEPKT_PS3_
                                        ; -- End function
	.section	.AMDGPU.csdata,"",@progbits
; Kernel info:
; codeLenInByte = 4
; NumSgprs: 0
; NumVgprs: 0
; ScratchSize: 0
; MemoryBound: 0
; FloatMode: 240
; IeeeMode: 1
; LDSByteSize: 0 bytes/workgroup (compile time only)
; SGPRBlocks: 0
; VGPRBlocks: 0
; NumSGPRsForWavesPerEU: 1
; NumVGPRsForWavesPerEU: 1
; Occupancy: 16
; WaveLimiterHint : 0
; COMPUTE_PGM_RSRC2:SCRATCH_EN: 0
; COMPUTE_PGM_RSRC2:USER_SGPR: 15
; COMPUTE_PGM_RSRC2:TRAP_HANDLER: 0
; COMPUTE_PGM_RSRC2:TGID_X_EN: 1
; COMPUTE_PGM_RSRC2:TGID_Y_EN: 0
; COMPUTE_PGM_RSRC2:TGID_Z_EN: 0
; COMPUTE_PGM_RSRC2:TIDIG_COMP_CNT: 0
	.section	.text._Z18warp_reduce_kernelIhLj64ELj100EENSt9enable_ifIXntsr15benchmark_utilsE35device_test_enabled_for_warp_size_vIXT0_EEEvE4typeEPKT_PS3_,"axG",@progbits,_Z18warp_reduce_kernelIhLj64ELj100EENSt9enable_ifIXntsr15benchmark_utilsE35device_test_enabled_for_warp_size_vIXT0_EEEvE4typeEPKT_PS3_,comdat
	.protected	_Z18warp_reduce_kernelIhLj64ELj100EENSt9enable_ifIXntsr15benchmark_utilsE35device_test_enabled_for_warp_size_vIXT0_EEEvE4typeEPKT_PS3_ ; -- Begin function _Z18warp_reduce_kernelIhLj64ELj100EENSt9enable_ifIXntsr15benchmark_utilsE35device_test_enabled_for_warp_size_vIXT0_EEEvE4typeEPKT_PS3_
	.globl	_Z18warp_reduce_kernelIhLj64ELj100EENSt9enable_ifIXntsr15benchmark_utilsE35device_test_enabled_for_warp_size_vIXT0_EEEvE4typeEPKT_PS3_
	.p2align	8
	.type	_Z18warp_reduce_kernelIhLj64ELj100EENSt9enable_ifIXntsr15benchmark_utilsE35device_test_enabled_for_warp_size_vIXT0_EEEvE4typeEPKT_PS3_,@function
_Z18warp_reduce_kernelIhLj64ELj100EENSt9enable_ifIXntsr15benchmark_utilsE35device_test_enabled_for_warp_size_vIXT0_EEEvE4typeEPKT_PS3_: ; @_Z18warp_reduce_kernelIhLj64ELj100EENSt9enable_ifIXntsr15benchmark_utilsE35device_test_enabled_for_warp_size_vIXT0_EEEvE4typeEPKT_PS3_
; %bb.0:
	s_endpgm
	.section	.rodata,"a",@progbits
	.p2align	6, 0x0
	.amdhsa_kernel _Z18warp_reduce_kernelIhLj64ELj100EENSt9enable_ifIXntsr15benchmark_utilsE35device_test_enabled_for_warp_size_vIXT0_EEEvE4typeEPKT_PS3_
		.amdhsa_group_segment_fixed_size 0
		.amdhsa_private_segment_fixed_size 0
		.amdhsa_kernarg_size 16
		.amdhsa_user_sgpr_count 15
		.amdhsa_user_sgpr_dispatch_ptr 0
		.amdhsa_user_sgpr_queue_ptr 0
		.amdhsa_user_sgpr_kernarg_segment_ptr 1
		.amdhsa_user_sgpr_dispatch_id 0
		.amdhsa_user_sgpr_private_segment_size 0
		.amdhsa_wavefront_size32 1
		.amdhsa_uses_dynamic_stack 0
		.amdhsa_enable_private_segment 0
		.amdhsa_system_sgpr_workgroup_id_x 1
		.amdhsa_system_sgpr_workgroup_id_y 0
		.amdhsa_system_sgpr_workgroup_id_z 0
		.amdhsa_system_sgpr_workgroup_info 0
		.amdhsa_system_vgpr_workitem_id 0
		.amdhsa_next_free_vgpr 1
		.amdhsa_next_free_sgpr 1
		.amdhsa_reserve_vcc 0
		.amdhsa_float_round_mode_32 0
		.amdhsa_float_round_mode_16_64 0
		.amdhsa_float_denorm_mode_32 3
		.amdhsa_float_denorm_mode_16_64 3
		.amdhsa_dx10_clamp 1
		.amdhsa_ieee_mode 1
		.amdhsa_fp16_overflow 0
		.amdhsa_workgroup_processor_mode 1
		.amdhsa_memory_ordered 1
		.amdhsa_forward_progress 0
		.amdhsa_shared_vgpr_count 0
		.amdhsa_exception_fp_ieee_invalid_op 0
		.amdhsa_exception_fp_denorm_src 0
		.amdhsa_exception_fp_ieee_div_zero 0
		.amdhsa_exception_fp_ieee_overflow 0
		.amdhsa_exception_fp_ieee_underflow 0
		.amdhsa_exception_fp_ieee_inexact 0
		.amdhsa_exception_int_div_zero 0
	.end_amdhsa_kernel
	.section	.text._Z18warp_reduce_kernelIhLj64ELj100EENSt9enable_ifIXntsr15benchmark_utilsE35device_test_enabled_for_warp_size_vIXT0_EEEvE4typeEPKT_PS3_,"axG",@progbits,_Z18warp_reduce_kernelIhLj64ELj100EENSt9enable_ifIXntsr15benchmark_utilsE35device_test_enabled_for_warp_size_vIXT0_EEEvE4typeEPKT_PS3_,comdat
.Lfunc_end34:
	.size	_Z18warp_reduce_kernelIhLj64ELj100EENSt9enable_ifIXntsr15benchmark_utilsE35device_test_enabled_for_warp_size_vIXT0_EEEvE4typeEPKT_PS3_, .Lfunc_end34-_Z18warp_reduce_kernelIhLj64ELj100EENSt9enable_ifIXntsr15benchmark_utilsE35device_test_enabled_for_warp_size_vIXT0_EEEvE4typeEPKT_PS3_
                                        ; -- End function
	.section	.AMDGPU.csdata,"",@progbits
; Kernel info:
; codeLenInByte = 4
; NumSgprs: 0
; NumVgprs: 0
; ScratchSize: 0
; MemoryBound: 0
; FloatMode: 240
; IeeeMode: 1
; LDSByteSize: 0 bytes/workgroup (compile time only)
; SGPRBlocks: 0
; VGPRBlocks: 0
; NumSGPRsForWavesPerEU: 1
; NumVGPRsForWavesPerEU: 1
; Occupancy: 16
; WaveLimiterHint : 0
; COMPUTE_PGM_RSRC2:SCRATCH_EN: 0
; COMPUTE_PGM_RSRC2:USER_SGPR: 15
; COMPUTE_PGM_RSRC2:TRAP_HANDLER: 0
; COMPUTE_PGM_RSRC2:TGID_X_EN: 1
; COMPUTE_PGM_RSRC2:TGID_Y_EN: 0
; COMPUTE_PGM_RSRC2:TGID_Z_EN: 0
; COMPUTE_PGM_RSRC2:TIDIG_COMP_CNT: 0
	.section	.text._Z28segmented_warp_reduce_kernelIihLj15ELj100EENSt9enable_ifIXsr15benchmark_utilsE35device_test_enabled_for_warp_size_vIXT1_EEEvE4typeEPKT_PT0_PS3_,"axG",@progbits,_Z28segmented_warp_reduce_kernelIihLj15ELj100EENSt9enable_ifIXsr15benchmark_utilsE35device_test_enabled_for_warp_size_vIXT1_EEEvE4typeEPKT_PT0_PS3_,comdat
	.protected	_Z28segmented_warp_reduce_kernelIihLj15ELj100EENSt9enable_ifIXsr15benchmark_utilsE35device_test_enabled_for_warp_size_vIXT1_EEEvE4typeEPKT_PT0_PS3_ ; -- Begin function _Z28segmented_warp_reduce_kernelIihLj15ELj100EENSt9enable_ifIXsr15benchmark_utilsE35device_test_enabled_for_warp_size_vIXT1_EEEvE4typeEPKT_PT0_PS3_
	.globl	_Z28segmented_warp_reduce_kernelIihLj15ELj100EENSt9enable_ifIXsr15benchmark_utilsE35device_test_enabled_for_warp_size_vIXT1_EEEvE4typeEPKT_PT0_PS3_
	.p2align	8
	.type	_Z28segmented_warp_reduce_kernelIihLj15ELj100EENSt9enable_ifIXsr15benchmark_utilsE35device_test_enabled_for_warp_size_vIXT1_EEEvE4typeEPKT_PT0_PS3_,@function
_Z28segmented_warp_reduce_kernelIihLj15ELj100EENSt9enable_ifIXsr15benchmark_utilsE35device_test_enabled_for_warp_size_vIXT1_EEEvE4typeEPKT_PT0_PS3_: ; @_Z28segmented_warp_reduce_kernelIihLj15ELj100EENSt9enable_ifIXsr15benchmark_utilsE35device_test_enabled_for_warp_size_vIXT1_EEEvE4typeEPKT_PT0_PS3_
; %bb.0:
	s_clause 0x1
	s_load_b32 s2, s[0:1], 0x24
	s_load_b128 s[4:7], s[0:1], 0x0
	v_mbcnt_lo_u32_b32 v5, -1, 0
	s_load_b64 s[0:1], s[0:1], 0x10
	s_waitcnt lgkmcnt(0)
	s_and_b32 s2, s2, 0xffff
	s_delay_alu instid0(SALU_CYCLE_1) | instskip(SKIP_2) | instid1(VALU_DEP_1)
	v_mad_u64_u32 v[2:3], null, s15, s2, v[0:1]
	v_mov_b32_e32 v3, 0
	s_movk_i32 s2, 0x64
	v_lshlrev_b64 v[0:1], 2, v[2:3]
	global_load_u8 v10, v2, s[6:7]
	v_add_co_u32 v2, vcc_lo, s4, v0
	v_add_co_ci_u32_e32 v3, vcc_lo, s5, v1, vcc_lo
	global_load_b32 v2, v[2:3], off
	v_mul_hi_u32 v3, 0x11111112, v5
	s_delay_alu instid0(VALU_DEP_1) | instskip(NEXT) | instid1(VALU_DEP_1)
	v_mul_u32_u24_e32 v3, 15, v3
	v_sub_nc_u32_e32 v4, v5, v3
	v_lshlrev_b32_e64 v5, v5, -1
	s_delay_alu instid0(VALU_DEP_2)
	v_lshlrev_b32_e32 v6, 2, v4
	v_add_nc_u32_e32 v7, 2, v4
	v_add_nc_u32_e32 v8, 4, v4
	;; [unrolled: 1-line block ×3, first 2 shown]
	s_waitcnt vmcnt(1)
	v_cmp_ne_u16_e32 vcc_lo, 0, v10
	v_cndmask_b32_e64 v10, 0, 1, vcc_lo
	s_branch .LBB35_2
.LBB35_1:                               ;   in Loop: Header=BB35_2 Depth=1
	s_or_b32 exec_lo, exec_lo, s3
	s_add_i32 s2, s2, -1
	s_delay_alu instid0(SALU_CYCLE_1)
	s_cmp_eq_u32 s2, 0
	; wave barrier
	s_cbranch_scc1 .LBB35_10
.LBB35_2:                               ; =>This Inner Loop Header: Depth=1
	s_delay_alu instid0(VALU_DEP_1) | instskip(SKIP_3) | instid1(SALU_CYCLE_1)
	v_cmp_ne_u32_e32 vcc_lo, 0, v10
	s_waitcnt vmcnt(0)
	ds_store_b32 v6, v2
	; wave barrier
	s_lshr_b32 s3, vcc_lo, 1
	v_and_b32_e32 v11, s3, v5
	s_mov_b32 s3, exec_lo
	s_delay_alu instid0(VALU_DEP_1) | instskip(NEXT) | instid1(VALU_DEP_1)
	v_lshrrev_b32_e32 v11, v3, v11
	v_or_b32_e32 v11, 0x4000, v11
	s_delay_alu instid0(VALU_DEP_1) | instskip(NEXT) | instid1(VALU_DEP_1)
	v_ctz_i32_b32_e32 v11, v11
	v_cmpx_lt_u32_e64 v4, v11
	s_cbranch_execz .LBB35_4
; %bb.3:                                ;   in Loop: Header=BB35_2 Depth=1
	ds_load_b32 v12, v6 offset:4
	s_waitcnt lgkmcnt(0)
	v_add_nc_u32_e32 v2, v12, v2
.LBB35_4:                               ;   in Loop: Header=BB35_2 Depth=1
	s_or_b32 exec_lo, exec_lo, s3
	s_delay_alu instid0(SALU_CYCLE_1)
	s_mov_b32 s3, exec_lo
	; wave barrier
	ds_store_b32 v6, v2
	; wave barrier
	v_cmpx_le_u32_e64 v7, v11
	s_cbranch_execz .LBB35_6
; %bb.5:                                ;   in Loop: Header=BB35_2 Depth=1
	ds_load_b32 v12, v6 offset:8
	s_waitcnt lgkmcnt(0)
	v_add_nc_u32_e32 v2, v12, v2
.LBB35_6:                               ;   in Loop: Header=BB35_2 Depth=1
	s_or_b32 exec_lo, exec_lo, s3
	s_delay_alu instid0(SALU_CYCLE_1)
	s_mov_b32 s3, exec_lo
	; wave barrier
	ds_store_b32 v6, v2
	; wave barrier
	v_cmpx_le_u32_e64 v8, v11
	;; [unrolled: 13-line block ×3, first 2 shown]
	s_cbranch_execz .LBB35_1
; %bb.9:                                ;   in Loop: Header=BB35_2 Depth=1
	ds_load_b32 v11, v6 offset:32
	s_waitcnt lgkmcnt(0)
	v_add_nc_u32_e32 v2, v11, v2
	s_branch .LBB35_1
.LBB35_10:
	v_add_co_u32 v0, vcc_lo, s0, v0
	v_add_co_ci_u32_e32 v1, vcc_lo, s1, v1, vcc_lo
	global_store_b32 v[0:1], v2, off
	s_nop 0
	s_sendmsg sendmsg(MSG_DEALLOC_VGPRS)
	s_endpgm
	.section	.rodata,"a",@progbits
	.p2align	6, 0x0
	.amdhsa_kernel _Z28segmented_warp_reduce_kernelIihLj15ELj100EENSt9enable_ifIXsr15benchmark_utilsE35device_test_enabled_for_warp_size_vIXT1_EEEvE4typeEPKT_PT0_PS3_
		.amdhsa_group_segment_fixed_size 60
		.amdhsa_private_segment_fixed_size 0
		.amdhsa_kernarg_size 280
		.amdhsa_user_sgpr_count 15
		.amdhsa_user_sgpr_dispatch_ptr 0
		.amdhsa_user_sgpr_queue_ptr 0
		.amdhsa_user_sgpr_kernarg_segment_ptr 1
		.amdhsa_user_sgpr_dispatch_id 0
		.amdhsa_user_sgpr_private_segment_size 0
		.amdhsa_wavefront_size32 1
		.amdhsa_uses_dynamic_stack 0
		.amdhsa_enable_private_segment 0
		.amdhsa_system_sgpr_workgroup_id_x 1
		.amdhsa_system_sgpr_workgroup_id_y 0
		.amdhsa_system_sgpr_workgroup_id_z 0
		.amdhsa_system_sgpr_workgroup_info 0
		.amdhsa_system_vgpr_workitem_id 0
		.amdhsa_next_free_vgpr 13
		.amdhsa_next_free_sgpr 16
		.amdhsa_reserve_vcc 1
		.amdhsa_float_round_mode_32 0
		.amdhsa_float_round_mode_16_64 0
		.amdhsa_float_denorm_mode_32 3
		.amdhsa_float_denorm_mode_16_64 3
		.amdhsa_dx10_clamp 1
		.amdhsa_ieee_mode 1
		.amdhsa_fp16_overflow 0
		.amdhsa_workgroup_processor_mode 1
		.amdhsa_memory_ordered 1
		.amdhsa_forward_progress 0
		.amdhsa_shared_vgpr_count 0
		.amdhsa_exception_fp_ieee_invalid_op 0
		.amdhsa_exception_fp_denorm_src 0
		.amdhsa_exception_fp_ieee_div_zero 0
		.amdhsa_exception_fp_ieee_overflow 0
		.amdhsa_exception_fp_ieee_underflow 0
		.amdhsa_exception_fp_ieee_inexact 0
		.amdhsa_exception_int_div_zero 0
	.end_amdhsa_kernel
	.section	.text._Z28segmented_warp_reduce_kernelIihLj15ELj100EENSt9enable_ifIXsr15benchmark_utilsE35device_test_enabled_for_warp_size_vIXT1_EEEvE4typeEPKT_PT0_PS3_,"axG",@progbits,_Z28segmented_warp_reduce_kernelIihLj15ELj100EENSt9enable_ifIXsr15benchmark_utilsE35device_test_enabled_for_warp_size_vIXT1_EEEvE4typeEPKT_PT0_PS3_,comdat
.Lfunc_end35:
	.size	_Z28segmented_warp_reduce_kernelIihLj15ELj100EENSt9enable_ifIXsr15benchmark_utilsE35device_test_enabled_for_warp_size_vIXT1_EEEvE4typeEPKT_PT0_PS3_, .Lfunc_end35-_Z28segmented_warp_reduce_kernelIihLj15ELj100EENSt9enable_ifIXsr15benchmark_utilsE35device_test_enabled_for_warp_size_vIXT1_EEEvE4typeEPKT_PT0_PS3_
                                        ; -- End function
	.section	.AMDGPU.csdata,"",@progbits
; Kernel info:
; codeLenInByte = 460
; NumSgprs: 18
; NumVgprs: 13
; ScratchSize: 0
; MemoryBound: 0
; FloatMode: 240
; IeeeMode: 1
; LDSByteSize: 60 bytes/workgroup (compile time only)
; SGPRBlocks: 2
; VGPRBlocks: 1
; NumSGPRsForWavesPerEU: 18
; NumVGPRsForWavesPerEU: 13
; Occupancy: 16
; WaveLimiterHint : 0
; COMPUTE_PGM_RSRC2:SCRATCH_EN: 0
; COMPUTE_PGM_RSRC2:USER_SGPR: 15
; COMPUTE_PGM_RSRC2:TRAP_HANDLER: 0
; COMPUTE_PGM_RSRC2:TGID_X_EN: 1
; COMPUTE_PGM_RSRC2:TGID_Y_EN: 0
; COMPUTE_PGM_RSRC2:TGID_Z_EN: 0
; COMPUTE_PGM_RSRC2:TIDIG_COMP_CNT: 0
	.section	.text._Z28segmented_warp_reduce_kernelIihLj16ELj100EENSt9enable_ifIXsr15benchmark_utilsE35device_test_enabled_for_warp_size_vIXT1_EEEvE4typeEPKT_PT0_PS3_,"axG",@progbits,_Z28segmented_warp_reduce_kernelIihLj16ELj100EENSt9enable_ifIXsr15benchmark_utilsE35device_test_enabled_for_warp_size_vIXT1_EEEvE4typeEPKT_PT0_PS3_,comdat
	.protected	_Z28segmented_warp_reduce_kernelIihLj16ELj100EENSt9enable_ifIXsr15benchmark_utilsE35device_test_enabled_for_warp_size_vIXT1_EEEvE4typeEPKT_PT0_PS3_ ; -- Begin function _Z28segmented_warp_reduce_kernelIihLj16ELj100EENSt9enable_ifIXsr15benchmark_utilsE35device_test_enabled_for_warp_size_vIXT1_EEEvE4typeEPKT_PT0_PS3_
	.globl	_Z28segmented_warp_reduce_kernelIihLj16ELj100EENSt9enable_ifIXsr15benchmark_utilsE35device_test_enabled_for_warp_size_vIXT1_EEEvE4typeEPKT_PT0_PS3_
	.p2align	8
	.type	_Z28segmented_warp_reduce_kernelIihLj16ELj100EENSt9enable_ifIXsr15benchmark_utilsE35device_test_enabled_for_warp_size_vIXT1_EEEvE4typeEPKT_PT0_PS3_,@function
_Z28segmented_warp_reduce_kernelIihLj16ELj100EENSt9enable_ifIXsr15benchmark_utilsE35device_test_enabled_for_warp_size_vIXT1_EEEvE4typeEPKT_PT0_PS3_: ; @_Z28segmented_warp_reduce_kernelIihLj16ELj100EENSt9enable_ifIXsr15benchmark_utilsE35device_test_enabled_for_warp_size_vIXT1_EEEvE4typeEPKT_PT0_PS3_
; %bb.0:
	s_clause 0x1
	s_load_b32 s2, s[0:1], 0x24
	s_load_b128 s[8:11], s[0:1], 0x0
	v_mbcnt_lo_u32_b32 v6, -1, 0
	s_load_b64 s[4:5], s[0:1], 0x10
	s_movk_i32 s3, 0x64
	s_delay_alu instid0(VALU_DEP_1) | instskip(NEXT) | instid1(VALU_DEP_1)
	v_and_b32_e32 v7, 15, v6
	v_add_nc_u32_e32 v8, 2, v7
	v_add_nc_u32_e32 v10, 4, v7
	;; [unrolled: 1-line block ×3, first 2 shown]
	s_waitcnt lgkmcnt(0)
	s_and_b32 s2, s2, 0xffff
	s_delay_alu instid0(SALU_CYCLE_1) | instskip(SKIP_3) | instid1(VALU_DEP_1)
	v_mad_u64_u32 v[1:2], null, s15, s2, v[0:1]
	v_mov_b32_e32 v2, 0
	global_load_u8 v4, v1, s[10:11]
	v_lshlrev_b64 v[0:1], 2, v[1:2]
	v_add_co_u32 v2, vcc_lo, s8, v0
	s_delay_alu instid0(VALU_DEP_2)
	v_add_co_ci_u32_e32 v3, vcc_lo, s9, v1, vcc_lo
	global_load_b32 v2, v[2:3], off
	s_waitcnt vmcnt(1)
	v_cmp_ne_u16_e32 vcc_lo, 0, v4
	v_and_b32_e32 v4, 16, v6
	v_cndmask_b32_e64 v3, 0, 1, vcc_lo
	s_delay_alu instid0(VALU_DEP_1) | instskip(SKIP_3) | instid1(VALU_DEP_2)
	v_cmp_ne_u32_e32 vcc_lo, 0, v3
	v_lshlrev_b32_e64 v3, v6, -1
	s_lshr_b32 s0, vcc_lo, 1
	v_cmp_ne_u32_e32 vcc_lo, 15, v7
	v_and_b32_e32 v3, s0, v3
	v_add_co_ci_u32_e32 v5, vcc_lo, 0, v6, vcc_lo
	v_cmp_gt_u32_e32 vcc_lo, 14, v7
	s_delay_alu instid0(VALU_DEP_3) | instskip(SKIP_2) | instid1(VALU_DEP_3)
	v_lshrrev_b32_e32 v3, v4, v3
	v_cndmask_b32_e64 v9, 0, 1, vcc_lo
	v_cmp_gt_u32_e32 vcc_lo, 12, v7
	v_or_b32_e32 v3, 0x8000, v3
	s_delay_alu instid0(VALU_DEP_3) | instskip(SKIP_2) | instid1(VALU_DEP_4)
	v_lshlrev_b32_e32 v9, 1, v9
	v_cndmask_b32_e64 v4, 0, 1, vcc_lo
	v_cmp_gt_u32_e32 vcc_lo, 8, v7
	v_ctz_i32_b32_e32 v14, v3
	v_lshlrev_b32_e32 v3, 2, v5
	s_delay_alu instid0(VALU_DEP_4)
	v_lshlrev_b32_e32 v13, 2, v4
	v_cndmask_b32_e64 v11, 0, 1, vcc_lo
	v_add_lshl_u32 v4, v9, v6, 2
	v_cmp_lt_u32_e32 vcc_lo, v7, v14
	v_cmp_le_u32_e64 s0, v8, v14
	v_add_lshl_u32 v5, v13, v6, 2
	v_lshlrev_b32_e32 v11, 3, v11
	v_cmp_le_u32_e64 s1, v10, v14
	v_cmp_le_u32_e64 s2, v12, v14
	s_delay_alu instid0(VALU_DEP_3)
	v_add_lshl_u32 v6, v11, v6, 2
	.p2align	6
.LBB36_1:                               ; =>This Inner Loop Header: Depth=1
	s_waitcnt vmcnt(0)
	ds_bpermute_b32 v7, v3, v2
	s_add_i32 s3, s3, -1
	s_delay_alu instid0(SALU_CYCLE_1) | instskip(SKIP_2) | instid1(VALU_DEP_1)
	s_cmp_eq_u32 s3, 0
	s_waitcnt lgkmcnt(0)
	v_cndmask_b32_e32 v7, 0, v7, vcc_lo
	v_add_nc_u32_e32 v2, v7, v2
	ds_bpermute_b32 v7, v4, v2
	s_waitcnt lgkmcnt(0)
	v_cndmask_b32_e64 v7, 0, v7, s0
	s_delay_alu instid0(VALU_DEP_1) | instskip(SKIP_3) | instid1(VALU_DEP_1)
	v_add_nc_u32_e32 v2, v2, v7
	ds_bpermute_b32 v7, v5, v2
	s_waitcnt lgkmcnt(0)
	v_cndmask_b32_e64 v7, 0, v7, s1
	v_add_nc_u32_e32 v2, v2, v7
	ds_bpermute_b32 v7, v6, v2
	s_waitcnt lgkmcnt(0)
	v_cndmask_b32_e64 v7, 0, v7, s2
	s_delay_alu instid0(VALU_DEP_1)
	v_add_nc_u32_e32 v2, v2, v7
	s_cbranch_scc0 .LBB36_1
; %bb.2:
	v_add_co_u32 v0, vcc_lo, s4, v0
	v_add_co_ci_u32_e32 v1, vcc_lo, s5, v1, vcc_lo
	global_store_b32 v[0:1], v2, off
	s_nop 0
	s_sendmsg sendmsg(MSG_DEALLOC_VGPRS)
	s_endpgm
	.section	.rodata,"a",@progbits
	.p2align	6, 0x0
	.amdhsa_kernel _Z28segmented_warp_reduce_kernelIihLj16ELj100EENSt9enable_ifIXsr15benchmark_utilsE35device_test_enabled_for_warp_size_vIXT1_EEEvE4typeEPKT_PT0_PS3_
		.amdhsa_group_segment_fixed_size 0
		.amdhsa_private_segment_fixed_size 0
		.amdhsa_kernarg_size 280
		.amdhsa_user_sgpr_count 15
		.amdhsa_user_sgpr_dispatch_ptr 0
		.amdhsa_user_sgpr_queue_ptr 0
		.amdhsa_user_sgpr_kernarg_segment_ptr 1
		.amdhsa_user_sgpr_dispatch_id 0
		.amdhsa_user_sgpr_private_segment_size 0
		.amdhsa_wavefront_size32 1
		.amdhsa_uses_dynamic_stack 0
		.amdhsa_enable_private_segment 0
		.amdhsa_system_sgpr_workgroup_id_x 1
		.amdhsa_system_sgpr_workgroup_id_y 0
		.amdhsa_system_sgpr_workgroup_id_z 0
		.amdhsa_system_sgpr_workgroup_info 0
		.amdhsa_system_vgpr_workitem_id 0
		.amdhsa_next_free_vgpr 15
		.amdhsa_next_free_sgpr 16
		.amdhsa_reserve_vcc 1
		.amdhsa_float_round_mode_32 0
		.amdhsa_float_round_mode_16_64 0
		.amdhsa_float_denorm_mode_32 3
		.amdhsa_float_denorm_mode_16_64 3
		.amdhsa_dx10_clamp 1
		.amdhsa_ieee_mode 1
		.amdhsa_fp16_overflow 0
		.amdhsa_workgroup_processor_mode 1
		.amdhsa_memory_ordered 1
		.amdhsa_forward_progress 0
		.amdhsa_shared_vgpr_count 0
		.amdhsa_exception_fp_ieee_invalid_op 0
		.amdhsa_exception_fp_denorm_src 0
		.amdhsa_exception_fp_ieee_div_zero 0
		.amdhsa_exception_fp_ieee_overflow 0
		.amdhsa_exception_fp_ieee_underflow 0
		.amdhsa_exception_fp_ieee_inexact 0
		.amdhsa_exception_int_div_zero 0
	.end_amdhsa_kernel
	.section	.text._Z28segmented_warp_reduce_kernelIihLj16ELj100EENSt9enable_ifIXsr15benchmark_utilsE35device_test_enabled_for_warp_size_vIXT1_EEEvE4typeEPKT_PT0_PS3_,"axG",@progbits,_Z28segmented_warp_reduce_kernelIihLj16ELj100EENSt9enable_ifIXsr15benchmark_utilsE35device_test_enabled_for_warp_size_vIXT1_EEEvE4typeEPKT_PT0_PS3_,comdat
.Lfunc_end36:
	.size	_Z28segmented_warp_reduce_kernelIihLj16ELj100EENSt9enable_ifIXsr15benchmark_utilsE35device_test_enabled_for_warp_size_vIXT1_EEEvE4typeEPKT_PT0_PS3_, .Lfunc_end36-_Z28segmented_warp_reduce_kernelIihLj16ELj100EENSt9enable_ifIXsr15benchmark_utilsE35device_test_enabled_for_warp_size_vIXT1_EEEvE4typeEPKT_PT0_PS3_
                                        ; -- End function
	.section	.AMDGPU.csdata,"",@progbits
; Kernel info:
; codeLenInByte = 468
; NumSgprs: 18
; NumVgprs: 15
; ScratchSize: 0
; MemoryBound: 0
; FloatMode: 240
; IeeeMode: 1
; LDSByteSize: 0 bytes/workgroup (compile time only)
; SGPRBlocks: 2
; VGPRBlocks: 1
; NumSGPRsForWavesPerEU: 18
; NumVGPRsForWavesPerEU: 15
; Occupancy: 16
; WaveLimiterHint : 0
; COMPUTE_PGM_RSRC2:SCRATCH_EN: 0
; COMPUTE_PGM_RSRC2:USER_SGPR: 15
; COMPUTE_PGM_RSRC2:TRAP_HANDLER: 0
; COMPUTE_PGM_RSRC2:TGID_X_EN: 1
; COMPUTE_PGM_RSRC2:TGID_Y_EN: 0
; COMPUTE_PGM_RSRC2:TGID_Z_EN: 0
; COMPUTE_PGM_RSRC2:TIDIG_COMP_CNT: 0
	.section	.text._Z28segmented_warp_reduce_kernelIihLj31ELj100EENSt9enable_ifIXsr15benchmark_utilsE35device_test_enabled_for_warp_size_vIXT1_EEEvE4typeEPKT_PT0_PS3_,"axG",@progbits,_Z28segmented_warp_reduce_kernelIihLj31ELj100EENSt9enable_ifIXsr15benchmark_utilsE35device_test_enabled_for_warp_size_vIXT1_EEEvE4typeEPKT_PT0_PS3_,comdat
	.protected	_Z28segmented_warp_reduce_kernelIihLj31ELj100EENSt9enable_ifIXsr15benchmark_utilsE35device_test_enabled_for_warp_size_vIXT1_EEEvE4typeEPKT_PT0_PS3_ ; -- Begin function _Z28segmented_warp_reduce_kernelIihLj31ELj100EENSt9enable_ifIXsr15benchmark_utilsE35device_test_enabled_for_warp_size_vIXT1_EEEvE4typeEPKT_PT0_PS3_
	.globl	_Z28segmented_warp_reduce_kernelIihLj31ELj100EENSt9enable_ifIXsr15benchmark_utilsE35device_test_enabled_for_warp_size_vIXT1_EEEvE4typeEPKT_PT0_PS3_
	.p2align	8
	.type	_Z28segmented_warp_reduce_kernelIihLj31ELj100EENSt9enable_ifIXsr15benchmark_utilsE35device_test_enabled_for_warp_size_vIXT1_EEEvE4typeEPKT_PT0_PS3_,@function
_Z28segmented_warp_reduce_kernelIihLj31ELj100EENSt9enable_ifIXsr15benchmark_utilsE35device_test_enabled_for_warp_size_vIXT1_EEEvE4typeEPKT_PT0_PS3_: ; @_Z28segmented_warp_reduce_kernelIihLj31ELj100EENSt9enable_ifIXsr15benchmark_utilsE35device_test_enabled_for_warp_size_vIXT1_EEEvE4typeEPKT_PT0_PS3_
; %bb.0:
	s_clause 0x1
	s_load_b32 s2, s[0:1], 0x24
	s_load_b128 s[4:7], s[0:1], 0x0
	v_mbcnt_lo_u32_b32 v5, -1, 0
	s_load_b64 s[0:1], s[0:1], 0x10
	s_waitcnt lgkmcnt(0)
	s_and_b32 s2, s2, 0xffff
	s_delay_alu instid0(SALU_CYCLE_1) | instskip(SKIP_2) | instid1(VALU_DEP_1)
	v_mad_u64_u32 v[2:3], null, s15, s2, v[0:1]
	v_mov_b32_e32 v3, 0
	s_movk_i32 s2, 0x64
	v_lshlrev_b64 v[0:1], 2, v[2:3]
	global_load_u8 v11, v2, s[6:7]
	v_add_co_u32 v2, vcc_lo, s4, v0
	v_add_co_ci_u32_e32 v3, vcc_lo, s5, v1, vcc_lo
	global_load_b32 v2, v[2:3], off
	v_mul_hi_u32 v3, 0x8421085, v5
	s_delay_alu instid0(VALU_DEP_1) | instskip(NEXT) | instid1(VALU_DEP_1)
	v_mul_u32_u24_e32 v3, 31, v3
	v_sub_nc_u32_e32 v4, v5, v3
	v_lshlrev_b32_e64 v5, v5, -1
	s_delay_alu instid0(VALU_DEP_2)
	v_lshlrev_b32_e32 v6, 2, v4
	v_add_nc_u32_e32 v7, 2, v4
	v_add_nc_u32_e32 v8, 4, v4
	;; [unrolled: 1-line block ×4, first 2 shown]
	s_waitcnt vmcnt(1)
	v_cmp_ne_u16_e32 vcc_lo, 0, v11
	v_cndmask_b32_e64 v11, 0, 1, vcc_lo
	s_branch .LBB37_2
.LBB37_1:                               ;   in Loop: Header=BB37_2 Depth=1
	s_or_b32 exec_lo, exec_lo, s3
	s_add_i32 s2, s2, -1
	s_delay_alu instid0(SALU_CYCLE_1)
	s_cmp_eq_u32 s2, 0
	; wave barrier
	s_cbranch_scc1 .LBB37_12
.LBB37_2:                               ; =>This Inner Loop Header: Depth=1
	s_delay_alu instid0(VALU_DEP_1) | instskip(SKIP_3) | instid1(SALU_CYCLE_1)
	v_cmp_ne_u32_e32 vcc_lo, 0, v11
	s_waitcnt vmcnt(0)
	ds_store_b32 v6, v2
	; wave barrier
	s_lshr_b32 s3, vcc_lo, 1
	v_and_b32_e32 v12, s3, v5
	s_mov_b32 s3, exec_lo
	s_delay_alu instid0(VALU_DEP_1) | instskip(NEXT) | instid1(VALU_DEP_1)
	v_lshrrev_b32_e32 v12, v3, v12
	v_or_b32_e32 v12, 2.0, v12
	s_delay_alu instid0(VALU_DEP_1) | instskip(NEXT) | instid1(VALU_DEP_1)
	v_ctz_i32_b32_e32 v12, v12
	v_cmpx_lt_u32_e64 v4, v12
	s_cbranch_execz .LBB37_4
; %bb.3:                                ;   in Loop: Header=BB37_2 Depth=1
	ds_load_b32 v13, v6 offset:4
	s_waitcnt lgkmcnt(0)
	v_add_nc_u32_e32 v2, v13, v2
.LBB37_4:                               ;   in Loop: Header=BB37_2 Depth=1
	s_or_b32 exec_lo, exec_lo, s3
	s_delay_alu instid0(SALU_CYCLE_1)
	s_mov_b32 s3, exec_lo
	; wave barrier
	ds_store_b32 v6, v2
	; wave barrier
	v_cmpx_le_u32_e64 v7, v12
	s_cbranch_execz .LBB37_6
; %bb.5:                                ;   in Loop: Header=BB37_2 Depth=1
	ds_load_b32 v13, v6 offset:8
	s_waitcnt lgkmcnt(0)
	v_add_nc_u32_e32 v2, v13, v2
.LBB37_6:                               ;   in Loop: Header=BB37_2 Depth=1
	s_or_b32 exec_lo, exec_lo, s3
	s_delay_alu instid0(SALU_CYCLE_1)
	s_mov_b32 s3, exec_lo
	; wave barrier
	ds_store_b32 v6, v2
	; wave barrier
	v_cmpx_le_u32_e64 v8, v12
	;; [unrolled: 13-line block ×3, first 2 shown]
	s_cbranch_execz .LBB37_10
; %bb.9:                                ;   in Loop: Header=BB37_2 Depth=1
	ds_load_b32 v13, v6 offset:32
	s_waitcnt lgkmcnt(0)
	v_add_nc_u32_e32 v2, v13, v2
.LBB37_10:                              ;   in Loop: Header=BB37_2 Depth=1
	s_or_b32 exec_lo, exec_lo, s3
	s_delay_alu instid0(SALU_CYCLE_1)
	s_mov_b32 s3, exec_lo
	; wave barrier
	ds_store_b32 v6, v2
	; wave barrier
	v_cmpx_le_u32_e64 v10, v12
	s_cbranch_execz .LBB37_1
; %bb.11:                               ;   in Loop: Header=BB37_2 Depth=1
	ds_load_b32 v12, v6 offset:64
	s_waitcnt lgkmcnt(0)
	v_add_nc_u32_e32 v2, v12, v2
	s_branch .LBB37_1
.LBB37_12:
	v_add_co_u32 v0, vcc_lo, s0, v0
	v_add_co_ci_u32_e32 v1, vcc_lo, s1, v1, vcc_lo
	global_store_b32 v[0:1], v2, off
	s_nop 0
	s_sendmsg sendmsg(MSG_DEALLOC_VGPRS)
	s_endpgm
	.section	.rodata,"a",@progbits
	.p2align	6, 0x0
	.amdhsa_kernel _Z28segmented_warp_reduce_kernelIihLj31ELj100EENSt9enable_ifIXsr15benchmark_utilsE35device_test_enabled_for_warp_size_vIXT1_EEEvE4typeEPKT_PT0_PS3_
		.amdhsa_group_segment_fixed_size 124
		.amdhsa_private_segment_fixed_size 0
		.amdhsa_kernarg_size 280
		.amdhsa_user_sgpr_count 15
		.amdhsa_user_sgpr_dispatch_ptr 0
		.amdhsa_user_sgpr_queue_ptr 0
		.amdhsa_user_sgpr_kernarg_segment_ptr 1
		.amdhsa_user_sgpr_dispatch_id 0
		.amdhsa_user_sgpr_private_segment_size 0
		.amdhsa_wavefront_size32 1
		.amdhsa_uses_dynamic_stack 0
		.amdhsa_enable_private_segment 0
		.amdhsa_system_sgpr_workgroup_id_x 1
		.amdhsa_system_sgpr_workgroup_id_y 0
		.amdhsa_system_sgpr_workgroup_id_z 0
		.amdhsa_system_sgpr_workgroup_info 0
		.amdhsa_system_vgpr_workitem_id 0
		.amdhsa_next_free_vgpr 14
		.amdhsa_next_free_sgpr 16
		.amdhsa_reserve_vcc 1
		.amdhsa_float_round_mode_32 0
		.amdhsa_float_round_mode_16_64 0
		.amdhsa_float_denorm_mode_32 3
		.amdhsa_float_denorm_mode_16_64 3
		.amdhsa_dx10_clamp 1
		.amdhsa_ieee_mode 1
		.amdhsa_fp16_overflow 0
		.amdhsa_workgroup_processor_mode 1
		.amdhsa_memory_ordered 1
		.amdhsa_forward_progress 0
		.amdhsa_shared_vgpr_count 0
		.amdhsa_exception_fp_ieee_invalid_op 0
		.amdhsa_exception_fp_denorm_src 0
		.amdhsa_exception_fp_ieee_div_zero 0
		.amdhsa_exception_fp_ieee_overflow 0
		.amdhsa_exception_fp_ieee_underflow 0
		.amdhsa_exception_fp_ieee_inexact 0
		.amdhsa_exception_int_div_zero 0
	.end_amdhsa_kernel
	.section	.text._Z28segmented_warp_reduce_kernelIihLj31ELj100EENSt9enable_ifIXsr15benchmark_utilsE35device_test_enabled_for_warp_size_vIXT1_EEEvE4typeEPKT_PT0_PS3_,"axG",@progbits,_Z28segmented_warp_reduce_kernelIihLj31ELj100EENSt9enable_ifIXsr15benchmark_utilsE35device_test_enabled_for_warp_size_vIXT1_EEEvE4typeEPKT_PT0_PS3_,comdat
.Lfunc_end37:
	.size	_Z28segmented_warp_reduce_kernelIihLj31ELj100EENSt9enable_ifIXsr15benchmark_utilsE35device_test_enabled_for_warp_size_vIXT1_EEEvE4typeEPKT_PT0_PS3_, .Lfunc_end37-_Z28segmented_warp_reduce_kernelIihLj31ELj100EENSt9enable_ifIXsr15benchmark_utilsE35device_test_enabled_for_warp_size_vIXT1_EEEvE4typeEPKT_PT0_PS3_
                                        ; -- End function
	.section	.AMDGPU.csdata,"",@progbits
; Kernel info:
; codeLenInByte = 508
; NumSgprs: 18
; NumVgprs: 14
; ScratchSize: 0
; MemoryBound: 0
; FloatMode: 240
; IeeeMode: 1
; LDSByteSize: 124 bytes/workgroup (compile time only)
; SGPRBlocks: 2
; VGPRBlocks: 1
; NumSGPRsForWavesPerEU: 18
; NumVGPRsForWavesPerEU: 14
; Occupancy: 16
; WaveLimiterHint : 0
; COMPUTE_PGM_RSRC2:SCRATCH_EN: 0
; COMPUTE_PGM_RSRC2:USER_SGPR: 15
; COMPUTE_PGM_RSRC2:TRAP_HANDLER: 0
; COMPUTE_PGM_RSRC2:TGID_X_EN: 1
; COMPUTE_PGM_RSRC2:TGID_Y_EN: 0
; COMPUTE_PGM_RSRC2:TGID_Z_EN: 0
; COMPUTE_PGM_RSRC2:TIDIG_COMP_CNT: 0
	.section	.text._Z28segmented_warp_reduce_kernelIihLj32ELj100EENSt9enable_ifIXsr15benchmark_utilsE35device_test_enabled_for_warp_size_vIXT1_EEEvE4typeEPKT_PT0_PS3_,"axG",@progbits,_Z28segmented_warp_reduce_kernelIihLj32ELj100EENSt9enable_ifIXsr15benchmark_utilsE35device_test_enabled_for_warp_size_vIXT1_EEEvE4typeEPKT_PT0_PS3_,comdat
	.protected	_Z28segmented_warp_reduce_kernelIihLj32ELj100EENSt9enable_ifIXsr15benchmark_utilsE35device_test_enabled_for_warp_size_vIXT1_EEEvE4typeEPKT_PT0_PS3_ ; -- Begin function _Z28segmented_warp_reduce_kernelIihLj32ELj100EENSt9enable_ifIXsr15benchmark_utilsE35device_test_enabled_for_warp_size_vIXT1_EEEvE4typeEPKT_PT0_PS3_
	.globl	_Z28segmented_warp_reduce_kernelIihLj32ELj100EENSt9enable_ifIXsr15benchmark_utilsE35device_test_enabled_for_warp_size_vIXT1_EEEvE4typeEPKT_PT0_PS3_
	.p2align	8
	.type	_Z28segmented_warp_reduce_kernelIihLj32ELj100EENSt9enable_ifIXsr15benchmark_utilsE35device_test_enabled_for_warp_size_vIXT1_EEEvE4typeEPKT_PT0_PS3_,@function
_Z28segmented_warp_reduce_kernelIihLj32ELj100EENSt9enable_ifIXsr15benchmark_utilsE35device_test_enabled_for_warp_size_vIXT1_EEEvE4typeEPKT_PT0_PS3_: ; @_Z28segmented_warp_reduce_kernelIihLj32ELj100EENSt9enable_ifIXsr15benchmark_utilsE35device_test_enabled_for_warp_size_vIXT1_EEEvE4typeEPKT_PT0_PS3_
; %bb.0:
	s_clause 0x1
	s_load_b32 s2, s[0:1], 0x24
	s_load_b128 s[8:11], s[0:1], 0x0
	v_mbcnt_lo_u32_b32 v7, -1, 0
	s_load_b64 s[4:5], s[0:1], 0x10
	s_movk_i32 s6, 0x64
	s_delay_alu instid0(VALU_DEP_1)
	v_cmp_gt_u32_e64 s0, 16, v7
	v_lshlrev_b32_e64 v5, v7, -1
	v_add_nc_u32_e32 v8, 1, v7
	v_add_nc_u32_e32 v11, 4, v7
	;; [unrolled: 1-line block ×5, first 2 shown]
	s_waitcnt lgkmcnt(0)
	s_and_b32 s2, s2, 0xffff
	s_delay_alu instid0(SALU_CYCLE_1) | instskip(SKIP_3) | instid1(VALU_DEP_1)
	v_mad_u64_u32 v[1:2], null, s15, s2, v[0:1]
	v_mov_b32_e32 v2, 0
	global_load_u8 v4, v1, s[10:11]
	v_lshlrev_b64 v[0:1], 2, v[1:2]
	v_add_co_u32 v2, vcc_lo, s8, v0
	s_delay_alu instid0(VALU_DEP_2) | instskip(SKIP_4) | instid1(VALU_DEP_2)
	v_add_co_ci_u32_e32 v3, vcc_lo, s9, v1, vcc_lo
	v_cmp_ne_u32_e32 vcc_lo, 31, v7
	global_load_b32 v2, v[2:3], off
	v_add_co_ci_u32_e32 v3, vcc_lo, 0, v7, vcc_lo
	v_cmp_gt_u32_e32 vcc_lo, 30, v7
	v_lshlrev_b32_e32 v3, 2, v3
	v_cndmask_b32_e64 v6, 0, 1, vcc_lo
	s_delay_alu instid0(VALU_DEP_1)
	v_lshlrev_b32_e32 v6, 1, v6
	s_waitcnt vmcnt(1)
	v_cmp_ne_u16_e32 vcc_lo, 0, v4
	v_cndmask_b32_e64 v4, 0, 1, vcc_lo
	v_cmp_gt_u32_e32 vcc_lo, 28, v7
	v_cndmask_b32_e64 v10, 0, 1, vcc_lo
	v_cmp_gt_u32_e32 vcc_lo, 24, v7
	s_delay_alu instid0(VALU_DEP_2) | instskip(SKIP_3) | instid1(VALU_DEP_3)
	v_lshlrev_b32_e32 v10, 2, v10
	v_cndmask_b32_e64 v12, 0, 1, vcc_lo
	v_cmp_ne_u32_e32 vcc_lo, 0, v4
	v_cndmask_b32_e64 v4, 0, 1, s0
	v_lshlrev_b32_e32 v12, 3, v12
	s_lshr_b32 s0, vcc_lo, 1
	s_delay_alu instid0(VALU_DEP_2) | instskip(SKIP_3) | instid1(VALU_DEP_3)
	v_lshlrev_b32_e32 v15, 4, v4
	v_and_or_b32 v5, v5, s0, 0x80000000
	v_add_lshl_u32 v4, v6, v7, 2
	v_add_lshl_u32 v6, v12, v7, 2
	v_ctz_i32_b32_e32 v16, v5
	v_add_lshl_u32 v5, v10, v7, 2
	v_add_lshl_u32 v7, v15, v7, 2
	s_delay_alu instid0(VALU_DEP_3)
	v_cmp_le_u32_e32 vcc_lo, v8, v16
	v_cmp_le_u32_e64 s0, v9, v16
	v_cmp_le_u32_e64 s1, v11, v16
	;; [unrolled: 1-line block ×4, first 2 shown]
	.p2align	6
.LBB38_1:                               ; =>This Inner Loop Header: Depth=1
	s_waitcnt vmcnt(0)
	ds_bpermute_b32 v8, v3, v2
	s_add_i32 s6, s6, -1
	s_delay_alu instid0(SALU_CYCLE_1) | instskip(SKIP_2) | instid1(VALU_DEP_1)
	s_cmp_eq_u32 s6, 0
	s_waitcnt lgkmcnt(0)
	v_cndmask_b32_e32 v8, 0, v8, vcc_lo
	v_add_nc_u32_e32 v2, v8, v2
	ds_bpermute_b32 v8, v4, v2
	s_waitcnt lgkmcnt(0)
	v_cndmask_b32_e64 v8, 0, v8, s0
	s_delay_alu instid0(VALU_DEP_1) | instskip(SKIP_3) | instid1(VALU_DEP_1)
	v_add_nc_u32_e32 v2, v2, v8
	ds_bpermute_b32 v8, v5, v2
	s_waitcnt lgkmcnt(0)
	v_cndmask_b32_e64 v8, 0, v8, s1
	v_add_nc_u32_e32 v2, v2, v8
	ds_bpermute_b32 v8, v6, v2
	s_waitcnt lgkmcnt(0)
	v_cndmask_b32_e64 v8, 0, v8, s2
	s_delay_alu instid0(VALU_DEP_1) | instskip(SKIP_3) | instid1(VALU_DEP_1)
	v_add_nc_u32_e32 v2, v2, v8
	ds_bpermute_b32 v8, v7, v2
	s_waitcnt lgkmcnt(0)
	v_cndmask_b32_e64 v8, 0, v8, s3
	v_add_nc_u32_e32 v2, v2, v8
	s_cbranch_scc0 .LBB38_1
; %bb.2:
	v_add_co_u32 v0, vcc_lo, s4, v0
	v_add_co_ci_u32_e32 v1, vcc_lo, s5, v1, vcc_lo
	global_store_b32 v[0:1], v2, off
	s_nop 0
	s_sendmsg sendmsg(MSG_DEALLOC_VGPRS)
	s_endpgm
	.section	.rodata,"a",@progbits
	.p2align	6, 0x0
	.amdhsa_kernel _Z28segmented_warp_reduce_kernelIihLj32ELj100EENSt9enable_ifIXsr15benchmark_utilsE35device_test_enabled_for_warp_size_vIXT1_EEEvE4typeEPKT_PT0_PS3_
		.amdhsa_group_segment_fixed_size 0
		.amdhsa_private_segment_fixed_size 0
		.amdhsa_kernarg_size 280
		.amdhsa_user_sgpr_count 15
		.amdhsa_user_sgpr_dispatch_ptr 0
		.amdhsa_user_sgpr_queue_ptr 0
		.amdhsa_user_sgpr_kernarg_segment_ptr 1
		.amdhsa_user_sgpr_dispatch_id 0
		.amdhsa_user_sgpr_private_segment_size 0
		.amdhsa_wavefront_size32 1
		.amdhsa_uses_dynamic_stack 0
		.amdhsa_enable_private_segment 0
		.amdhsa_system_sgpr_workgroup_id_x 1
		.amdhsa_system_sgpr_workgroup_id_y 0
		.amdhsa_system_sgpr_workgroup_id_z 0
		.amdhsa_system_sgpr_workgroup_info 0
		.amdhsa_system_vgpr_workitem_id 0
		.amdhsa_next_free_vgpr 17
		.amdhsa_next_free_sgpr 16
		.amdhsa_reserve_vcc 1
		.amdhsa_float_round_mode_32 0
		.amdhsa_float_round_mode_16_64 0
		.amdhsa_float_denorm_mode_32 3
		.amdhsa_float_denorm_mode_16_64 3
		.amdhsa_dx10_clamp 1
		.amdhsa_ieee_mode 1
		.amdhsa_fp16_overflow 0
		.amdhsa_workgroup_processor_mode 1
		.amdhsa_memory_ordered 1
		.amdhsa_forward_progress 0
		.amdhsa_shared_vgpr_count 0
		.amdhsa_exception_fp_ieee_invalid_op 0
		.amdhsa_exception_fp_denorm_src 0
		.amdhsa_exception_fp_ieee_div_zero 0
		.amdhsa_exception_fp_ieee_overflow 0
		.amdhsa_exception_fp_ieee_underflow 0
		.amdhsa_exception_fp_ieee_inexact 0
		.amdhsa_exception_int_div_zero 0
	.end_amdhsa_kernel
	.section	.text._Z28segmented_warp_reduce_kernelIihLj32ELj100EENSt9enable_ifIXsr15benchmark_utilsE35device_test_enabled_for_warp_size_vIXT1_EEEvE4typeEPKT_PT0_PS3_,"axG",@progbits,_Z28segmented_warp_reduce_kernelIihLj32ELj100EENSt9enable_ifIXsr15benchmark_utilsE35device_test_enabled_for_warp_size_vIXT1_EEEvE4typeEPKT_PT0_PS3_,comdat
.Lfunc_end38:
	.size	_Z28segmented_warp_reduce_kernelIihLj32ELj100EENSt9enable_ifIXsr15benchmark_utilsE35device_test_enabled_for_warp_size_vIXT1_EEEvE4typeEPKT_PT0_PS3_, .Lfunc_end38-_Z28segmented_warp_reduce_kernelIihLj32ELj100EENSt9enable_ifIXsr15benchmark_utilsE35device_test_enabled_for_warp_size_vIXT1_EEEvE4typeEPKT_PT0_PS3_
                                        ; -- End function
	.section	.AMDGPU.csdata,"",@progbits
; Kernel info:
; codeLenInByte = 520
; NumSgprs: 18
; NumVgprs: 17
; ScratchSize: 0
; MemoryBound: 0
; FloatMode: 240
; IeeeMode: 1
; LDSByteSize: 0 bytes/workgroup (compile time only)
; SGPRBlocks: 2
; VGPRBlocks: 2
; NumSGPRsForWavesPerEU: 18
; NumVGPRsForWavesPerEU: 17
; Occupancy: 16
; WaveLimiterHint : 0
; COMPUTE_PGM_RSRC2:SCRATCH_EN: 0
; COMPUTE_PGM_RSRC2:USER_SGPR: 15
; COMPUTE_PGM_RSRC2:TRAP_HANDLER: 0
; COMPUTE_PGM_RSRC2:TGID_X_EN: 1
; COMPUTE_PGM_RSRC2:TGID_Y_EN: 0
; COMPUTE_PGM_RSRC2:TGID_Z_EN: 0
; COMPUTE_PGM_RSRC2:TIDIG_COMP_CNT: 0
	.section	.text._Z28segmented_warp_reduce_kernelIihLj37ELj100EENSt9enable_ifIXntsr15benchmark_utilsE35device_test_enabled_for_warp_size_vIXT1_EEEvE4typeEPKT_PT0_PS3_,"axG",@progbits,_Z28segmented_warp_reduce_kernelIihLj37ELj100EENSt9enable_ifIXntsr15benchmark_utilsE35device_test_enabled_for_warp_size_vIXT1_EEEvE4typeEPKT_PT0_PS3_,comdat
	.protected	_Z28segmented_warp_reduce_kernelIihLj37ELj100EENSt9enable_ifIXntsr15benchmark_utilsE35device_test_enabled_for_warp_size_vIXT1_EEEvE4typeEPKT_PT0_PS3_ ; -- Begin function _Z28segmented_warp_reduce_kernelIihLj37ELj100EENSt9enable_ifIXntsr15benchmark_utilsE35device_test_enabled_for_warp_size_vIXT1_EEEvE4typeEPKT_PT0_PS3_
	.globl	_Z28segmented_warp_reduce_kernelIihLj37ELj100EENSt9enable_ifIXntsr15benchmark_utilsE35device_test_enabled_for_warp_size_vIXT1_EEEvE4typeEPKT_PT0_PS3_
	.p2align	8
	.type	_Z28segmented_warp_reduce_kernelIihLj37ELj100EENSt9enable_ifIXntsr15benchmark_utilsE35device_test_enabled_for_warp_size_vIXT1_EEEvE4typeEPKT_PT0_PS3_,@function
_Z28segmented_warp_reduce_kernelIihLj37ELj100EENSt9enable_ifIXntsr15benchmark_utilsE35device_test_enabled_for_warp_size_vIXT1_EEEvE4typeEPKT_PT0_PS3_: ; @_Z28segmented_warp_reduce_kernelIihLj37ELj100EENSt9enable_ifIXntsr15benchmark_utilsE35device_test_enabled_for_warp_size_vIXT1_EEEvE4typeEPKT_PT0_PS3_
; %bb.0:
	s_endpgm
	.section	.rodata,"a",@progbits
	.p2align	6, 0x0
	.amdhsa_kernel _Z28segmented_warp_reduce_kernelIihLj37ELj100EENSt9enable_ifIXntsr15benchmark_utilsE35device_test_enabled_for_warp_size_vIXT1_EEEvE4typeEPKT_PT0_PS3_
		.amdhsa_group_segment_fixed_size 0
		.amdhsa_private_segment_fixed_size 0
		.amdhsa_kernarg_size 24
		.amdhsa_user_sgpr_count 15
		.amdhsa_user_sgpr_dispatch_ptr 0
		.amdhsa_user_sgpr_queue_ptr 0
		.amdhsa_user_sgpr_kernarg_segment_ptr 1
		.amdhsa_user_sgpr_dispatch_id 0
		.amdhsa_user_sgpr_private_segment_size 0
		.amdhsa_wavefront_size32 1
		.amdhsa_uses_dynamic_stack 0
		.amdhsa_enable_private_segment 0
		.amdhsa_system_sgpr_workgroup_id_x 1
		.amdhsa_system_sgpr_workgroup_id_y 0
		.amdhsa_system_sgpr_workgroup_id_z 0
		.amdhsa_system_sgpr_workgroup_info 0
		.amdhsa_system_vgpr_workitem_id 0
		.amdhsa_next_free_vgpr 1
		.amdhsa_next_free_sgpr 1
		.amdhsa_reserve_vcc 0
		.amdhsa_float_round_mode_32 0
		.amdhsa_float_round_mode_16_64 0
		.amdhsa_float_denorm_mode_32 3
		.amdhsa_float_denorm_mode_16_64 3
		.amdhsa_dx10_clamp 1
		.amdhsa_ieee_mode 1
		.amdhsa_fp16_overflow 0
		.amdhsa_workgroup_processor_mode 1
		.amdhsa_memory_ordered 1
		.amdhsa_forward_progress 0
		.amdhsa_shared_vgpr_count 0
		.amdhsa_exception_fp_ieee_invalid_op 0
		.amdhsa_exception_fp_denorm_src 0
		.amdhsa_exception_fp_ieee_div_zero 0
		.amdhsa_exception_fp_ieee_overflow 0
		.amdhsa_exception_fp_ieee_underflow 0
		.amdhsa_exception_fp_ieee_inexact 0
		.amdhsa_exception_int_div_zero 0
	.end_amdhsa_kernel
	.section	.text._Z28segmented_warp_reduce_kernelIihLj37ELj100EENSt9enable_ifIXntsr15benchmark_utilsE35device_test_enabled_for_warp_size_vIXT1_EEEvE4typeEPKT_PT0_PS3_,"axG",@progbits,_Z28segmented_warp_reduce_kernelIihLj37ELj100EENSt9enable_ifIXntsr15benchmark_utilsE35device_test_enabled_for_warp_size_vIXT1_EEEvE4typeEPKT_PT0_PS3_,comdat
.Lfunc_end39:
	.size	_Z28segmented_warp_reduce_kernelIihLj37ELj100EENSt9enable_ifIXntsr15benchmark_utilsE35device_test_enabled_for_warp_size_vIXT1_EEEvE4typeEPKT_PT0_PS3_, .Lfunc_end39-_Z28segmented_warp_reduce_kernelIihLj37ELj100EENSt9enable_ifIXntsr15benchmark_utilsE35device_test_enabled_for_warp_size_vIXT1_EEEvE4typeEPKT_PT0_PS3_
                                        ; -- End function
	.section	.AMDGPU.csdata,"",@progbits
; Kernel info:
; codeLenInByte = 4
; NumSgprs: 0
; NumVgprs: 0
; ScratchSize: 0
; MemoryBound: 0
; FloatMode: 240
; IeeeMode: 1
; LDSByteSize: 0 bytes/workgroup (compile time only)
; SGPRBlocks: 0
; VGPRBlocks: 0
; NumSGPRsForWavesPerEU: 1
; NumVGPRsForWavesPerEU: 1
; Occupancy: 16
; WaveLimiterHint : 0
; COMPUTE_PGM_RSRC2:SCRATCH_EN: 0
; COMPUTE_PGM_RSRC2:USER_SGPR: 15
; COMPUTE_PGM_RSRC2:TRAP_HANDLER: 0
; COMPUTE_PGM_RSRC2:TGID_X_EN: 1
; COMPUTE_PGM_RSRC2:TGID_Y_EN: 0
; COMPUTE_PGM_RSRC2:TGID_Z_EN: 0
; COMPUTE_PGM_RSRC2:TIDIG_COMP_CNT: 0
	.section	.text._Z28segmented_warp_reduce_kernelIihLj61ELj100EENSt9enable_ifIXntsr15benchmark_utilsE35device_test_enabled_for_warp_size_vIXT1_EEEvE4typeEPKT_PT0_PS3_,"axG",@progbits,_Z28segmented_warp_reduce_kernelIihLj61ELj100EENSt9enable_ifIXntsr15benchmark_utilsE35device_test_enabled_for_warp_size_vIXT1_EEEvE4typeEPKT_PT0_PS3_,comdat
	.protected	_Z28segmented_warp_reduce_kernelIihLj61ELj100EENSt9enable_ifIXntsr15benchmark_utilsE35device_test_enabled_for_warp_size_vIXT1_EEEvE4typeEPKT_PT0_PS3_ ; -- Begin function _Z28segmented_warp_reduce_kernelIihLj61ELj100EENSt9enable_ifIXntsr15benchmark_utilsE35device_test_enabled_for_warp_size_vIXT1_EEEvE4typeEPKT_PT0_PS3_
	.globl	_Z28segmented_warp_reduce_kernelIihLj61ELj100EENSt9enable_ifIXntsr15benchmark_utilsE35device_test_enabled_for_warp_size_vIXT1_EEEvE4typeEPKT_PT0_PS3_
	.p2align	8
	.type	_Z28segmented_warp_reduce_kernelIihLj61ELj100EENSt9enable_ifIXntsr15benchmark_utilsE35device_test_enabled_for_warp_size_vIXT1_EEEvE4typeEPKT_PT0_PS3_,@function
_Z28segmented_warp_reduce_kernelIihLj61ELj100EENSt9enable_ifIXntsr15benchmark_utilsE35device_test_enabled_for_warp_size_vIXT1_EEEvE4typeEPKT_PT0_PS3_: ; @_Z28segmented_warp_reduce_kernelIihLj61ELj100EENSt9enable_ifIXntsr15benchmark_utilsE35device_test_enabled_for_warp_size_vIXT1_EEEvE4typeEPKT_PT0_PS3_
; %bb.0:
	s_endpgm
	.section	.rodata,"a",@progbits
	.p2align	6, 0x0
	.amdhsa_kernel _Z28segmented_warp_reduce_kernelIihLj61ELj100EENSt9enable_ifIXntsr15benchmark_utilsE35device_test_enabled_for_warp_size_vIXT1_EEEvE4typeEPKT_PT0_PS3_
		.amdhsa_group_segment_fixed_size 0
		.amdhsa_private_segment_fixed_size 0
		.amdhsa_kernarg_size 24
		.amdhsa_user_sgpr_count 15
		.amdhsa_user_sgpr_dispatch_ptr 0
		.amdhsa_user_sgpr_queue_ptr 0
		.amdhsa_user_sgpr_kernarg_segment_ptr 1
		.amdhsa_user_sgpr_dispatch_id 0
		.amdhsa_user_sgpr_private_segment_size 0
		.amdhsa_wavefront_size32 1
		.amdhsa_uses_dynamic_stack 0
		.amdhsa_enable_private_segment 0
		.amdhsa_system_sgpr_workgroup_id_x 1
		.amdhsa_system_sgpr_workgroup_id_y 0
		.amdhsa_system_sgpr_workgroup_id_z 0
		.amdhsa_system_sgpr_workgroup_info 0
		.amdhsa_system_vgpr_workitem_id 0
		.amdhsa_next_free_vgpr 1
		.amdhsa_next_free_sgpr 1
		.amdhsa_reserve_vcc 0
		.amdhsa_float_round_mode_32 0
		.amdhsa_float_round_mode_16_64 0
		.amdhsa_float_denorm_mode_32 3
		.amdhsa_float_denorm_mode_16_64 3
		.amdhsa_dx10_clamp 1
		.amdhsa_ieee_mode 1
		.amdhsa_fp16_overflow 0
		.amdhsa_workgroup_processor_mode 1
		.amdhsa_memory_ordered 1
		.amdhsa_forward_progress 0
		.amdhsa_shared_vgpr_count 0
		.amdhsa_exception_fp_ieee_invalid_op 0
		.amdhsa_exception_fp_denorm_src 0
		.amdhsa_exception_fp_ieee_div_zero 0
		.amdhsa_exception_fp_ieee_overflow 0
		.amdhsa_exception_fp_ieee_underflow 0
		.amdhsa_exception_fp_ieee_inexact 0
		.amdhsa_exception_int_div_zero 0
	.end_amdhsa_kernel
	.section	.text._Z28segmented_warp_reduce_kernelIihLj61ELj100EENSt9enable_ifIXntsr15benchmark_utilsE35device_test_enabled_for_warp_size_vIXT1_EEEvE4typeEPKT_PT0_PS3_,"axG",@progbits,_Z28segmented_warp_reduce_kernelIihLj61ELj100EENSt9enable_ifIXntsr15benchmark_utilsE35device_test_enabled_for_warp_size_vIXT1_EEEvE4typeEPKT_PT0_PS3_,comdat
.Lfunc_end40:
	.size	_Z28segmented_warp_reduce_kernelIihLj61ELj100EENSt9enable_ifIXntsr15benchmark_utilsE35device_test_enabled_for_warp_size_vIXT1_EEEvE4typeEPKT_PT0_PS3_, .Lfunc_end40-_Z28segmented_warp_reduce_kernelIihLj61ELj100EENSt9enable_ifIXntsr15benchmark_utilsE35device_test_enabled_for_warp_size_vIXT1_EEEvE4typeEPKT_PT0_PS3_
                                        ; -- End function
	.section	.AMDGPU.csdata,"",@progbits
; Kernel info:
; codeLenInByte = 4
; NumSgprs: 0
; NumVgprs: 0
; ScratchSize: 0
; MemoryBound: 0
; FloatMode: 240
; IeeeMode: 1
; LDSByteSize: 0 bytes/workgroup (compile time only)
; SGPRBlocks: 0
; VGPRBlocks: 0
; NumSGPRsForWavesPerEU: 1
; NumVGPRsForWavesPerEU: 1
; Occupancy: 16
; WaveLimiterHint : 0
; COMPUTE_PGM_RSRC2:SCRATCH_EN: 0
; COMPUTE_PGM_RSRC2:USER_SGPR: 15
; COMPUTE_PGM_RSRC2:TRAP_HANDLER: 0
; COMPUTE_PGM_RSRC2:TGID_X_EN: 1
; COMPUTE_PGM_RSRC2:TGID_Y_EN: 0
; COMPUTE_PGM_RSRC2:TGID_Z_EN: 0
; COMPUTE_PGM_RSRC2:TIDIG_COMP_CNT: 0
	.section	.text._Z28segmented_warp_reduce_kernelIihLj64ELj100EENSt9enable_ifIXntsr15benchmark_utilsE35device_test_enabled_for_warp_size_vIXT1_EEEvE4typeEPKT_PT0_PS3_,"axG",@progbits,_Z28segmented_warp_reduce_kernelIihLj64ELj100EENSt9enable_ifIXntsr15benchmark_utilsE35device_test_enabled_for_warp_size_vIXT1_EEEvE4typeEPKT_PT0_PS3_,comdat
	.protected	_Z28segmented_warp_reduce_kernelIihLj64ELj100EENSt9enable_ifIXntsr15benchmark_utilsE35device_test_enabled_for_warp_size_vIXT1_EEEvE4typeEPKT_PT0_PS3_ ; -- Begin function _Z28segmented_warp_reduce_kernelIihLj64ELj100EENSt9enable_ifIXntsr15benchmark_utilsE35device_test_enabled_for_warp_size_vIXT1_EEEvE4typeEPKT_PT0_PS3_
	.globl	_Z28segmented_warp_reduce_kernelIihLj64ELj100EENSt9enable_ifIXntsr15benchmark_utilsE35device_test_enabled_for_warp_size_vIXT1_EEEvE4typeEPKT_PT0_PS3_
	.p2align	8
	.type	_Z28segmented_warp_reduce_kernelIihLj64ELj100EENSt9enable_ifIXntsr15benchmark_utilsE35device_test_enabled_for_warp_size_vIXT1_EEEvE4typeEPKT_PT0_PS3_,@function
_Z28segmented_warp_reduce_kernelIihLj64ELj100EENSt9enable_ifIXntsr15benchmark_utilsE35device_test_enabled_for_warp_size_vIXT1_EEEvE4typeEPKT_PT0_PS3_: ; @_Z28segmented_warp_reduce_kernelIihLj64ELj100EENSt9enable_ifIXntsr15benchmark_utilsE35device_test_enabled_for_warp_size_vIXT1_EEEvE4typeEPKT_PT0_PS3_
; %bb.0:
	s_endpgm
	.section	.rodata,"a",@progbits
	.p2align	6, 0x0
	.amdhsa_kernel _Z28segmented_warp_reduce_kernelIihLj64ELj100EENSt9enable_ifIXntsr15benchmark_utilsE35device_test_enabled_for_warp_size_vIXT1_EEEvE4typeEPKT_PT0_PS3_
		.amdhsa_group_segment_fixed_size 0
		.amdhsa_private_segment_fixed_size 0
		.amdhsa_kernarg_size 24
		.amdhsa_user_sgpr_count 15
		.amdhsa_user_sgpr_dispatch_ptr 0
		.amdhsa_user_sgpr_queue_ptr 0
		.amdhsa_user_sgpr_kernarg_segment_ptr 1
		.amdhsa_user_sgpr_dispatch_id 0
		.amdhsa_user_sgpr_private_segment_size 0
		.amdhsa_wavefront_size32 1
		.amdhsa_uses_dynamic_stack 0
		.amdhsa_enable_private_segment 0
		.amdhsa_system_sgpr_workgroup_id_x 1
		.amdhsa_system_sgpr_workgroup_id_y 0
		.amdhsa_system_sgpr_workgroup_id_z 0
		.amdhsa_system_sgpr_workgroup_info 0
		.amdhsa_system_vgpr_workitem_id 0
		.amdhsa_next_free_vgpr 1
		.amdhsa_next_free_sgpr 1
		.amdhsa_reserve_vcc 0
		.amdhsa_float_round_mode_32 0
		.amdhsa_float_round_mode_16_64 0
		.amdhsa_float_denorm_mode_32 3
		.amdhsa_float_denorm_mode_16_64 3
		.amdhsa_dx10_clamp 1
		.amdhsa_ieee_mode 1
		.amdhsa_fp16_overflow 0
		.amdhsa_workgroup_processor_mode 1
		.amdhsa_memory_ordered 1
		.amdhsa_forward_progress 0
		.amdhsa_shared_vgpr_count 0
		.amdhsa_exception_fp_ieee_invalid_op 0
		.amdhsa_exception_fp_denorm_src 0
		.amdhsa_exception_fp_ieee_div_zero 0
		.amdhsa_exception_fp_ieee_overflow 0
		.amdhsa_exception_fp_ieee_underflow 0
		.amdhsa_exception_fp_ieee_inexact 0
		.amdhsa_exception_int_div_zero 0
	.end_amdhsa_kernel
	.section	.text._Z28segmented_warp_reduce_kernelIihLj64ELj100EENSt9enable_ifIXntsr15benchmark_utilsE35device_test_enabled_for_warp_size_vIXT1_EEEvE4typeEPKT_PT0_PS3_,"axG",@progbits,_Z28segmented_warp_reduce_kernelIihLj64ELj100EENSt9enable_ifIXntsr15benchmark_utilsE35device_test_enabled_for_warp_size_vIXT1_EEEvE4typeEPKT_PT0_PS3_,comdat
.Lfunc_end41:
	.size	_Z28segmented_warp_reduce_kernelIihLj64ELj100EENSt9enable_ifIXntsr15benchmark_utilsE35device_test_enabled_for_warp_size_vIXT1_EEEvE4typeEPKT_PT0_PS3_, .Lfunc_end41-_Z28segmented_warp_reduce_kernelIihLj64ELj100EENSt9enable_ifIXntsr15benchmark_utilsE35device_test_enabled_for_warp_size_vIXT1_EEEvE4typeEPKT_PT0_PS3_
                                        ; -- End function
	.section	.AMDGPU.csdata,"",@progbits
; Kernel info:
; codeLenInByte = 4
; NumSgprs: 0
; NumVgprs: 0
; ScratchSize: 0
; MemoryBound: 0
; FloatMode: 240
; IeeeMode: 1
; LDSByteSize: 0 bytes/workgroup (compile time only)
; SGPRBlocks: 0
; VGPRBlocks: 0
; NumSGPRsForWavesPerEU: 1
; NumVGPRsForWavesPerEU: 1
; Occupancy: 16
; WaveLimiterHint : 0
; COMPUTE_PGM_RSRC2:SCRATCH_EN: 0
; COMPUTE_PGM_RSRC2:USER_SGPR: 15
; COMPUTE_PGM_RSRC2:TRAP_HANDLER: 0
; COMPUTE_PGM_RSRC2:TGID_X_EN: 1
; COMPUTE_PGM_RSRC2:TGID_Y_EN: 0
; COMPUTE_PGM_RSRC2:TGID_Z_EN: 0
; COMPUTE_PGM_RSRC2:TIDIG_COMP_CNT: 0
	.section	.text._Z28segmented_warp_reduce_kernelIfhLj15ELj100EENSt9enable_ifIXsr15benchmark_utilsE35device_test_enabled_for_warp_size_vIXT1_EEEvE4typeEPKT_PT0_PS3_,"axG",@progbits,_Z28segmented_warp_reduce_kernelIfhLj15ELj100EENSt9enable_ifIXsr15benchmark_utilsE35device_test_enabled_for_warp_size_vIXT1_EEEvE4typeEPKT_PT0_PS3_,comdat
	.protected	_Z28segmented_warp_reduce_kernelIfhLj15ELj100EENSt9enable_ifIXsr15benchmark_utilsE35device_test_enabled_for_warp_size_vIXT1_EEEvE4typeEPKT_PT0_PS3_ ; -- Begin function _Z28segmented_warp_reduce_kernelIfhLj15ELj100EENSt9enable_ifIXsr15benchmark_utilsE35device_test_enabled_for_warp_size_vIXT1_EEEvE4typeEPKT_PT0_PS3_
	.globl	_Z28segmented_warp_reduce_kernelIfhLj15ELj100EENSt9enable_ifIXsr15benchmark_utilsE35device_test_enabled_for_warp_size_vIXT1_EEEvE4typeEPKT_PT0_PS3_
	.p2align	8
	.type	_Z28segmented_warp_reduce_kernelIfhLj15ELj100EENSt9enable_ifIXsr15benchmark_utilsE35device_test_enabled_for_warp_size_vIXT1_EEEvE4typeEPKT_PT0_PS3_,@function
_Z28segmented_warp_reduce_kernelIfhLj15ELj100EENSt9enable_ifIXsr15benchmark_utilsE35device_test_enabled_for_warp_size_vIXT1_EEEvE4typeEPKT_PT0_PS3_: ; @_Z28segmented_warp_reduce_kernelIfhLj15ELj100EENSt9enable_ifIXsr15benchmark_utilsE35device_test_enabled_for_warp_size_vIXT1_EEEvE4typeEPKT_PT0_PS3_
; %bb.0:
	s_clause 0x1
	s_load_b32 s2, s[0:1], 0x24
	s_load_b128 s[4:7], s[0:1], 0x0
	v_mbcnt_lo_u32_b32 v5, -1, 0
	s_load_b64 s[0:1], s[0:1], 0x10
	s_waitcnt lgkmcnt(0)
	s_and_b32 s2, s2, 0xffff
	s_delay_alu instid0(SALU_CYCLE_1) | instskip(SKIP_2) | instid1(VALU_DEP_1)
	v_mad_u64_u32 v[2:3], null, s15, s2, v[0:1]
	v_mov_b32_e32 v3, 0
	s_movk_i32 s2, 0x64
	v_lshlrev_b64 v[0:1], 2, v[2:3]
	global_load_u8 v10, v2, s[6:7]
	v_add_co_u32 v2, vcc_lo, s4, v0
	v_add_co_ci_u32_e32 v3, vcc_lo, s5, v1, vcc_lo
	global_load_b32 v2, v[2:3], off
	v_mul_hi_u32 v3, 0x11111112, v5
	s_delay_alu instid0(VALU_DEP_1) | instskip(NEXT) | instid1(VALU_DEP_1)
	v_mul_u32_u24_e32 v3, 15, v3
	v_sub_nc_u32_e32 v4, v5, v3
	v_lshlrev_b32_e64 v5, v5, -1
	s_delay_alu instid0(VALU_DEP_2)
	v_lshlrev_b32_e32 v6, 2, v4
	v_add_nc_u32_e32 v7, 2, v4
	v_add_nc_u32_e32 v8, 4, v4
	;; [unrolled: 1-line block ×3, first 2 shown]
	s_waitcnt vmcnt(1)
	v_cmp_ne_u16_e32 vcc_lo, 0, v10
	v_cndmask_b32_e64 v10, 0, 1, vcc_lo
	s_branch .LBB42_2
.LBB42_1:                               ;   in Loop: Header=BB42_2 Depth=1
	s_or_b32 exec_lo, exec_lo, s3
	s_add_i32 s2, s2, -1
	s_delay_alu instid0(SALU_CYCLE_1)
	s_cmp_eq_u32 s2, 0
	; wave barrier
	s_cbranch_scc1 .LBB42_10
.LBB42_2:                               ; =>This Inner Loop Header: Depth=1
	s_delay_alu instid0(VALU_DEP_1) | instskip(SKIP_3) | instid1(SALU_CYCLE_1)
	v_cmp_ne_u32_e32 vcc_lo, 0, v10
	s_waitcnt vmcnt(0)
	ds_store_b32 v6, v2
	; wave barrier
	s_lshr_b32 s3, vcc_lo, 1
	v_and_b32_e32 v11, s3, v5
	s_mov_b32 s3, exec_lo
	s_delay_alu instid0(VALU_DEP_1) | instskip(NEXT) | instid1(VALU_DEP_1)
	v_lshrrev_b32_e32 v11, v3, v11
	v_or_b32_e32 v11, 0x4000, v11
	s_delay_alu instid0(VALU_DEP_1) | instskip(NEXT) | instid1(VALU_DEP_1)
	v_ctz_i32_b32_e32 v11, v11
	v_cmpx_lt_u32_e64 v4, v11
	s_cbranch_execz .LBB42_4
; %bb.3:                                ;   in Loop: Header=BB42_2 Depth=1
	ds_load_b32 v12, v6 offset:4
	s_waitcnt lgkmcnt(0)
	v_add_f32_e32 v2, v2, v12
.LBB42_4:                               ;   in Loop: Header=BB42_2 Depth=1
	s_or_b32 exec_lo, exec_lo, s3
	s_delay_alu instid0(SALU_CYCLE_1)
	s_mov_b32 s3, exec_lo
	; wave barrier
	ds_store_b32 v6, v2
	; wave barrier
	v_cmpx_le_u32_e64 v7, v11
	s_cbranch_execz .LBB42_6
; %bb.5:                                ;   in Loop: Header=BB42_2 Depth=1
	ds_load_b32 v12, v6 offset:8
	s_waitcnt lgkmcnt(0)
	v_add_f32_e32 v2, v2, v12
.LBB42_6:                               ;   in Loop: Header=BB42_2 Depth=1
	s_or_b32 exec_lo, exec_lo, s3
	s_delay_alu instid0(SALU_CYCLE_1)
	s_mov_b32 s3, exec_lo
	; wave barrier
	ds_store_b32 v6, v2
	; wave barrier
	v_cmpx_le_u32_e64 v8, v11
	;; [unrolled: 13-line block ×3, first 2 shown]
	s_cbranch_execz .LBB42_1
; %bb.9:                                ;   in Loop: Header=BB42_2 Depth=1
	ds_load_b32 v11, v6 offset:32
	s_waitcnt lgkmcnt(0)
	v_add_f32_e32 v2, v2, v11
	s_branch .LBB42_1
.LBB42_10:
	v_add_co_u32 v0, vcc_lo, s0, v0
	v_add_co_ci_u32_e32 v1, vcc_lo, s1, v1, vcc_lo
	global_store_b32 v[0:1], v2, off
	s_nop 0
	s_sendmsg sendmsg(MSG_DEALLOC_VGPRS)
	s_endpgm
	.section	.rodata,"a",@progbits
	.p2align	6, 0x0
	.amdhsa_kernel _Z28segmented_warp_reduce_kernelIfhLj15ELj100EENSt9enable_ifIXsr15benchmark_utilsE35device_test_enabled_for_warp_size_vIXT1_EEEvE4typeEPKT_PT0_PS3_
		.amdhsa_group_segment_fixed_size 60
		.amdhsa_private_segment_fixed_size 0
		.amdhsa_kernarg_size 280
		.amdhsa_user_sgpr_count 15
		.amdhsa_user_sgpr_dispatch_ptr 0
		.amdhsa_user_sgpr_queue_ptr 0
		.amdhsa_user_sgpr_kernarg_segment_ptr 1
		.amdhsa_user_sgpr_dispatch_id 0
		.amdhsa_user_sgpr_private_segment_size 0
		.amdhsa_wavefront_size32 1
		.amdhsa_uses_dynamic_stack 0
		.amdhsa_enable_private_segment 0
		.amdhsa_system_sgpr_workgroup_id_x 1
		.amdhsa_system_sgpr_workgroup_id_y 0
		.amdhsa_system_sgpr_workgroup_id_z 0
		.amdhsa_system_sgpr_workgroup_info 0
		.amdhsa_system_vgpr_workitem_id 0
		.amdhsa_next_free_vgpr 13
		.amdhsa_next_free_sgpr 16
		.amdhsa_reserve_vcc 1
		.amdhsa_float_round_mode_32 0
		.amdhsa_float_round_mode_16_64 0
		.amdhsa_float_denorm_mode_32 3
		.amdhsa_float_denorm_mode_16_64 3
		.amdhsa_dx10_clamp 1
		.amdhsa_ieee_mode 1
		.amdhsa_fp16_overflow 0
		.amdhsa_workgroup_processor_mode 1
		.amdhsa_memory_ordered 1
		.amdhsa_forward_progress 0
		.amdhsa_shared_vgpr_count 0
		.amdhsa_exception_fp_ieee_invalid_op 0
		.amdhsa_exception_fp_denorm_src 0
		.amdhsa_exception_fp_ieee_div_zero 0
		.amdhsa_exception_fp_ieee_overflow 0
		.amdhsa_exception_fp_ieee_underflow 0
		.amdhsa_exception_fp_ieee_inexact 0
		.amdhsa_exception_int_div_zero 0
	.end_amdhsa_kernel
	.section	.text._Z28segmented_warp_reduce_kernelIfhLj15ELj100EENSt9enable_ifIXsr15benchmark_utilsE35device_test_enabled_for_warp_size_vIXT1_EEEvE4typeEPKT_PT0_PS3_,"axG",@progbits,_Z28segmented_warp_reduce_kernelIfhLj15ELj100EENSt9enable_ifIXsr15benchmark_utilsE35device_test_enabled_for_warp_size_vIXT1_EEEvE4typeEPKT_PT0_PS3_,comdat
.Lfunc_end42:
	.size	_Z28segmented_warp_reduce_kernelIfhLj15ELj100EENSt9enable_ifIXsr15benchmark_utilsE35device_test_enabled_for_warp_size_vIXT1_EEEvE4typeEPKT_PT0_PS3_, .Lfunc_end42-_Z28segmented_warp_reduce_kernelIfhLj15ELj100EENSt9enable_ifIXsr15benchmark_utilsE35device_test_enabled_for_warp_size_vIXT1_EEEvE4typeEPKT_PT0_PS3_
                                        ; -- End function
	.section	.AMDGPU.csdata,"",@progbits
; Kernel info:
; codeLenInByte = 460
; NumSgprs: 18
; NumVgprs: 13
; ScratchSize: 0
; MemoryBound: 0
; FloatMode: 240
; IeeeMode: 1
; LDSByteSize: 60 bytes/workgroup (compile time only)
; SGPRBlocks: 2
; VGPRBlocks: 1
; NumSGPRsForWavesPerEU: 18
; NumVGPRsForWavesPerEU: 13
; Occupancy: 16
; WaveLimiterHint : 0
; COMPUTE_PGM_RSRC2:SCRATCH_EN: 0
; COMPUTE_PGM_RSRC2:USER_SGPR: 15
; COMPUTE_PGM_RSRC2:TRAP_HANDLER: 0
; COMPUTE_PGM_RSRC2:TGID_X_EN: 1
; COMPUTE_PGM_RSRC2:TGID_Y_EN: 0
; COMPUTE_PGM_RSRC2:TGID_Z_EN: 0
; COMPUTE_PGM_RSRC2:TIDIG_COMP_CNT: 0
	.section	.text._Z28segmented_warp_reduce_kernelIfhLj16ELj100EENSt9enable_ifIXsr15benchmark_utilsE35device_test_enabled_for_warp_size_vIXT1_EEEvE4typeEPKT_PT0_PS3_,"axG",@progbits,_Z28segmented_warp_reduce_kernelIfhLj16ELj100EENSt9enable_ifIXsr15benchmark_utilsE35device_test_enabled_for_warp_size_vIXT1_EEEvE4typeEPKT_PT0_PS3_,comdat
	.protected	_Z28segmented_warp_reduce_kernelIfhLj16ELj100EENSt9enable_ifIXsr15benchmark_utilsE35device_test_enabled_for_warp_size_vIXT1_EEEvE4typeEPKT_PT0_PS3_ ; -- Begin function _Z28segmented_warp_reduce_kernelIfhLj16ELj100EENSt9enable_ifIXsr15benchmark_utilsE35device_test_enabled_for_warp_size_vIXT1_EEEvE4typeEPKT_PT0_PS3_
	.globl	_Z28segmented_warp_reduce_kernelIfhLj16ELj100EENSt9enable_ifIXsr15benchmark_utilsE35device_test_enabled_for_warp_size_vIXT1_EEEvE4typeEPKT_PT0_PS3_
	.p2align	8
	.type	_Z28segmented_warp_reduce_kernelIfhLj16ELj100EENSt9enable_ifIXsr15benchmark_utilsE35device_test_enabled_for_warp_size_vIXT1_EEEvE4typeEPKT_PT0_PS3_,@function
_Z28segmented_warp_reduce_kernelIfhLj16ELj100EENSt9enable_ifIXsr15benchmark_utilsE35device_test_enabled_for_warp_size_vIXT1_EEEvE4typeEPKT_PT0_PS3_: ; @_Z28segmented_warp_reduce_kernelIfhLj16ELj100EENSt9enable_ifIXsr15benchmark_utilsE35device_test_enabled_for_warp_size_vIXT1_EEEvE4typeEPKT_PT0_PS3_
; %bb.0:
	s_clause 0x1
	s_load_b32 s2, s[0:1], 0x24
	s_load_b128 s[8:11], s[0:1], 0x0
	v_mbcnt_lo_u32_b32 v6, -1, 0
	s_load_b64 s[4:5], s[0:1], 0x10
	s_movk_i32 s3, 0x64
	s_delay_alu instid0(VALU_DEP_1) | instskip(NEXT) | instid1(VALU_DEP_1)
	v_and_b32_e32 v7, 15, v6
	v_add_nc_u32_e32 v8, 2, v7
	v_add_nc_u32_e32 v10, 4, v7
	;; [unrolled: 1-line block ×3, first 2 shown]
	s_waitcnt lgkmcnt(0)
	s_and_b32 s2, s2, 0xffff
	s_delay_alu instid0(SALU_CYCLE_1) | instskip(SKIP_3) | instid1(VALU_DEP_1)
	v_mad_u64_u32 v[1:2], null, s15, s2, v[0:1]
	v_mov_b32_e32 v2, 0
	global_load_u8 v4, v1, s[10:11]
	v_lshlrev_b64 v[0:1], 2, v[1:2]
	v_add_co_u32 v2, vcc_lo, s8, v0
	s_delay_alu instid0(VALU_DEP_2)
	v_add_co_ci_u32_e32 v3, vcc_lo, s9, v1, vcc_lo
	global_load_b32 v2, v[2:3], off
	s_waitcnt vmcnt(1)
	v_cmp_ne_u16_e32 vcc_lo, 0, v4
	v_and_b32_e32 v4, 16, v6
	v_cndmask_b32_e64 v3, 0, 1, vcc_lo
	s_delay_alu instid0(VALU_DEP_1) | instskip(SKIP_3) | instid1(VALU_DEP_2)
	v_cmp_ne_u32_e32 vcc_lo, 0, v3
	v_lshlrev_b32_e64 v3, v6, -1
	s_lshr_b32 s0, vcc_lo, 1
	v_cmp_ne_u32_e32 vcc_lo, 15, v7
	v_and_b32_e32 v3, s0, v3
	v_add_co_ci_u32_e32 v5, vcc_lo, 0, v6, vcc_lo
	v_cmp_gt_u32_e32 vcc_lo, 14, v7
	s_delay_alu instid0(VALU_DEP_3) | instskip(SKIP_2) | instid1(VALU_DEP_3)
	v_lshrrev_b32_e32 v3, v4, v3
	v_cndmask_b32_e64 v9, 0, 1, vcc_lo
	v_cmp_gt_u32_e32 vcc_lo, 12, v7
	v_or_b32_e32 v3, 0x8000, v3
	s_delay_alu instid0(VALU_DEP_3) | instskip(SKIP_2) | instid1(VALU_DEP_4)
	v_lshlrev_b32_e32 v9, 1, v9
	v_cndmask_b32_e64 v4, 0, 1, vcc_lo
	v_cmp_gt_u32_e32 vcc_lo, 8, v7
	v_ctz_i32_b32_e32 v14, v3
	v_lshlrev_b32_e32 v3, 2, v5
	s_delay_alu instid0(VALU_DEP_4)
	v_lshlrev_b32_e32 v13, 2, v4
	v_cndmask_b32_e64 v11, 0, 1, vcc_lo
	v_add_lshl_u32 v4, v9, v6, 2
	v_cmp_lt_u32_e32 vcc_lo, v7, v14
	v_cmp_gt_u32_e64 s0, v8, v14
	v_add_lshl_u32 v5, v13, v6, 2
	v_lshlrev_b32_e32 v11, 3, v11
	v_cmp_gt_u32_e64 s1, v10, v14
	v_cmp_gt_u32_e64 s2, v12, v14
	s_delay_alu instid0(VALU_DEP_3)
	v_add_lshl_u32 v6, v11, v6, 2
	.p2align	6
.LBB43_1:                               ; =>This Inner Loop Header: Depth=1
	s_waitcnt vmcnt(0)
	ds_bpermute_b32 v7, v3, v2
	s_add_i32 s3, s3, -1
	s_delay_alu instid0(SALU_CYCLE_1) | instskip(SKIP_2) | instid1(VALU_DEP_1)
	s_cmp_eq_u32 s3, 0
	s_waitcnt lgkmcnt(0)
	v_add_f32_e32 v7, v2, v7
	v_cndmask_b32_e32 v7, v2, v7, vcc_lo
	ds_bpermute_b32 v8, v4, v7
	s_waitcnt lgkmcnt(0)
	v_add_f32_e32 v8, v7, v8
	s_delay_alu instid0(VALU_DEP_1) | instskip(SKIP_4) | instid1(VALU_DEP_1)
	v_cndmask_b32_e64 v7, v8, v7, s0
	ds_bpermute_b32 v8, v5, v7
	v_cndmask_b32_e32 v2, v2, v7, vcc_lo
	s_waitcnt lgkmcnt(0)
	v_add_f32_e32 v8, v7, v8
	v_cndmask_b32_e64 v9, v8, v7, s1
	s_delay_alu instid0(VALU_DEP_3) | instskip(SKIP_3) | instid1(VALU_DEP_1)
	v_cndmask_b32_e64 v2, v8, v2, s1
	ds_bpermute_b32 v10, v6, v9
	s_waitcnt lgkmcnt(0)
	v_add_f32_e32 v7, v9, v10
	v_cndmask_b32_e64 v2, v7, v2, s2
	s_cbranch_scc0 .LBB43_1
; %bb.2:
	v_add_co_u32 v0, vcc_lo, s4, v0
	v_add_co_ci_u32_e32 v1, vcc_lo, s5, v1, vcc_lo
	global_store_b32 v[0:1], v2, off
	s_nop 0
	s_sendmsg sendmsg(MSG_DEALLOC_VGPRS)
	s_endpgm
	.section	.rodata,"a",@progbits
	.p2align	6, 0x0
	.amdhsa_kernel _Z28segmented_warp_reduce_kernelIfhLj16ELj100EENSt9enable_ifIXsr15benchmark_utilsE35device_test_enabled_for_warp_size_vIXT1_EEEvE4typeEPKT_PT0_PS3_
		.amdhsa_group_segment_fixed_size 0
		.amdhsa_private_segment_fixed_size 0
		.amdhsa_kernarg_size 280
		.amdhsa_user_sgpr_count 15
		.amdhsa_user_sgpr_dispatch_ptr 0
		.amdhsa_user_sgpr_queue_ptr 0
		.amdhsa_user_sgpr_kernarg_segment_ptr 1
		.amdhsa_user_sgpr_dispatch_id 0
		.amdhsa_user_sgpr_private_segment_size 0
		.amdhsa_wavefront_size32 1
		.amdhsa_uses_dynamic_stack 0
		.amdhsa_enable_private_segment 0
		.amdhsa_system_sgpr_workgroup_id_x 1
		.amdhsa_system_sgpr_workgroup_id_y 0
		.amdhsa_system_sgpr_workgroup_id_z 0
		.amdhsa_system_sgpr_workgroup_info 0
		.amdhsa_system_vgpr_workitem_id 0
		.amdhsa_next_free_vgpr 15
		.amdhsa_next_free_sgpr 16
		.amdhsa_reserve_vcc 1
		.amdhsa_float_round_mode_32 0
		.amdhsa_float_round_mode_16_64 0
		.amdhsa_float_denorm_mode_32 3
		.amdhsa_float_denorm_mode_16_64 3
		.amdhsa_dx10_clamp 1
		.amdhsa_ieee_mode 1
		.amdhsa_fp16_overflow 0
		.amdhsa_workgroup_processor_mode 1
		.amdhsa_memory_ordered 1
		.amdhsa_forward_progress 0
		.amdhsa_shared_vgpr_count 0
		.amdhsa_exception_fp_ieee_invalid_op 0
		.amdhsa_exception_fp_denorm_src 0
		.amdhsa_exception_fp_ieee_div_zero 0
		.amdhsa_exception_fp_ieee_overflow 0
		.amdhsa_exception_fp_ieee_underflow 0
		.amdhsa_exception_fp_ieee_inexact 0
		.amdhsa_exception_int_div_zero 0
	.end_amdhsa_kernel
	.section	.text._Z28segmented_warp_reduce_kernelIfhLj16ELj100EENSt9enable_ifIXsr15benchmark_utilsE35device_test_enabled_for_warp_size_vIXT1_EEEvE4typeEPKT_PT0_PS3_,"axG",@progbits,_Z28segmented_warp_reduce_kernelIfhLj16ELj100EENSt9enable_ifIXsr15benchmark_utilsE35device_test_enabled_for_warp_size_vIXT1_EEEvE4typeEPKT_PT0_PS3_,comdat
.Lfunc_end43:
	.size	_Z28segmented_warp_reduce_kernelIfhLj16ELj100EENSt9enable_ifIXsr15benchmark_utilsE35device_test_enabled_for_warp_size_vIXT1_EEEvE4typeEPKT_PT0_PS3_, .Lfunc_end43-_Z28segmented_warp_reduce_kernelIfhLj16ELj100EENSt9enable_ifIXsr15benchmark_utilsE35device_test_enabled_for_warp_size_vIXT1_EEEvE4typeEPKT_PT0_PS3_
                                        ; -- End function
	.section	.AMDGPU.csdata,"",@progbits
; Kernel info:
; codeLenInByte = 480
; NumSgprs: 18
; NumVgprs: 15
; ScratchSize: 0
; MemoryBound: 0
; FloatMode: 240
; IeeeMode: 1
; LDSByteSize: 0 bytes/workgroup (compile time only)
; SGPRBlocks: 2
; VGPRBlocks: 1
; NumSGPRsForWavesPerEU: 18
; NumVGPRsForWavesPerEU: 15
; Occupancy: 16
; WaveLimiterHint : 0
; COMPUTE_PGM_RSRC2:SCRATCH_EN: 0
; COMPUTE_PGM_RSRC2:USER_SGPR: 15
; COMPUTE_PGM_RSRC2:TRAP_HANDLER: 0
; COMPUTE_PGM_RSRC2:TGID_X_EN: 1
; COMPUTE_PGM_RSRC2:TGID_Y_EN: 0
; COMPUTE_PGM_RSRC2:TGID_Z_EN: 0
; COMPUTE_PGM_RSRC2:TIDIG_COMP_CNT: 0
	.section	.text._Z28segmented_warp_reduce_kernelIfhLj31ELj100EENSt9enable_ifIXsr15benchmark_utilsE35device_test_enabled_for_warp_size_vIXT1_EEEvE4typeEPKT_PT0_PS3_,"axG",@progbits,_Z28segmented_warp_reduce_kernelIfhLj31ELj100EENSt9enable_ifIXsr15benchmark_utilsE35device_test_enabled_for_warp_size_vIXT1_EEEvE4typeEPKT_PT0_PS3_,comdat
	.protected	_Z28segmented_warp_reduce_kernelIfhLj31ELj100EENSt9enable_ifIXsr15benchmark_utilsE35device_test_enabled_for_warp_size_vIXT1_EEEvE4typeEPKT_PT0_PS3_ ; -- Begin function _Z28segmented_warp_reduce_kernelIfhLj31ELj100EENSt9enable_ifIXsr15benchmark_utilsE35device_test_enabled_for_warp_size_vIXT1_EEEvE4typeEPKT_PT0_PS3_
	.globl	_Z28segmented_warp_reduce_kernelIfhLj31ELj100EENSt9enable_ifIXsr15benchmark_utilsE35device_test_enabled_for_warp_size_vIXT1_EEEvE4typeEPKT_PT0_PS3_
	.p2align	8
	.type	_Z28segmented_warp_reduce_kernelIfhLj31ELj100EENSt9enable_ifIXsr15benchmark_utilsE35device_test_enabled_for_warp_size_vIXT1_EEEvE4typeEPKT_PT0_PS3_,@function
_Z28segmented_warp_reduce_kernelIfhLj31ELj100EENSt9enable_ifIXsr15benchmark_utilsE35device_test_enabled_for_warp_size_vIXT1_EEEvE4typeEPKT_PT0_PS3_: ; @_Z28segmented_warp_reduce_kernelIfhLj31ELj100EENSt9enable_ifIXsr15benchmark_utilsE35device_test_enabled_for_warp_size_vIXT1_EEEvE4typeEPKT_PT0_PS3_
; %bb.0:
	s_clause 0x1
	s_load_b32 s2, s[0:1], 0x24
	s_load_b128 s[4:7], s[0:1], 0x0
	v_mbcnt_lo_u32_b32 v5, -1, 0
	s_load_b64 s[0:1], s[0:1], 0x10
	s_waitcnt lgkmcnt(0)
	s_and_b32 s2, s2, 0xffff
	s_delay_alu instid0(SALU_CYCLE_1) | instskip(SKIP_2) | instid1(VALU_DEP_1)
	v_mad_u64_u32 v[2:3], null, s15, s2, v[0:1]
	v_mov_b32_e32 v3, 0
	s_movk_i32 s2, 0x64
	v_lshlrev_b64 v[0:1], 2, v[2:3]
	global_load_u8 v11, v2, s[6:7]
	v_add_co_u32 v2, vcc_lo, s4, v0
	v_add_co_ci_u32_e32 v3, vcc_lo, s5, v1, vcc_lo
	global_load_b32 v2, v[2:3], off
	v_mul_hi_u32 v3, 0x8421085, v5
	s_delay_alu instid0(VALU_DEP_1) | instskip(NEXT) | instid1(VALU_DEP_1)
	v_mul_u32_u24_e32 v3, 31, v3
	v_sub_nc_u32_e32 v4, v5, v3
	v_lshlrev_b32_e64 v5, v5, -1
	s_delay_alu instid0(VALU_DEP_2)
	v_lshlrev_b32_e32 v6, 2, v4
	v_add_nc_u32_e32 v7, 2, v4
	v_add_nc_u32_e32 v8, 4, v4
	;; [unrolled: 1-line block ×4, first 2 shown]
	s_waitcnt vmcnt(1)
	v_cmp_ne_u16_e32 vcc_lo, 0, v11
	v_cndmask_b32_e64 v11, 0, 1, vcc_lo
	s_branch .LBB44_2
.LBB44_1:                               ;   in Loop: Header=BB44_2 Depth=1
	s_or_b32 exec_lo, exec_lo, s3
	s_add_i32 s2, s2, -1
	s_delay_alu instid0(SALU_CYCLE_1)
	s_cmp_eq_u32 s2, 0
	; wave barrier
	s_cbranch_scc1 .LBB44_12
.LBB44_2:                               ; =>This Inner Loop Header: Depth=1
	s_delay_alu instid0(VALU_DEP_1) | instskip(SKIP_3) | instid1(SALU_CYCLE_1)
	v_cmp_ne_u32_e32 vcc_lo, 0, v11
	s_waitcnt vmcnt(0)
	ds_store_b32 v6, v2
	; wave barrier
	s_lshr_b32 s3, vcc_lo, 1
	v_and_b32_e32 v12, s3, v5
	s_mov_b32 s3, exec_lo
	s_delay_alu instid0(VALU_DEP_1) | instskip(NEXT) | instid1(VALU_DEP_1)
	v_lshrrev_b32_e32 v12, v3, v12
	v_or_b32_e32 v12, 2.0, v12
	s_delay_alu instid0(VALU_DEP_1) | instskip(NEXT) | instid1(VALU_DEP_1)
	v_ctz_i32_b32_e32 v12, v12
	v_cmpx_lt_u32_e64 v4, v12
	s_cbranch_execz .LBB44_4
; %bb.3:                                ;   in Loop: Header=BB44_2 Depth=1
	ds_load_b32 v13, v6 offset:4
	s_waitcnt lgkmcnt(0)
	v_add_f32_e32 v2, v2, v13
.LBB44_4:                               ;   in Loop: Header=BB44_2 Depth=1
	s_or_b32 exec_lo, exec_lo, s3
	s_delay_alu instid0(SALU_CYCLE_1)
	s_mov_b32 s3, exec_lo
	; wave barrier
	ds_store_b32 v6, v2
	; wave barrier
	v_cmpx_le_u32_e64 v7, v12
	s_cbranch_execz .LBB44_6
; %bb.5:                                ;   in Loop: Header=BB44_2 Depth=1
	ds_load_b32 v13, v6 offset:8
	s_waitcnt lgkmcnt(0)
	v_add_f32_e32 v2, v2, v13
.LBB44_6:                               ;   in Loop: Header=BB44_2 Depth=1
	s_or_b32 exec_lo, exec_lo, s3
	s_delay_alu instid0(SALU_CYCLE_1)
	s_mov_b32 s3, exec_lo
	; wave barrier
	ds_store_b32 v6, v2
	; wave barrier
	v_cmpx_le_u32_e64 v8, v12
	;; [unrolled: 13-line block ×3, first 2 shown]
	s_cbranch_execz .LBB44_10
; %bb.9:                                ;   in Loop: Header=BB44_2 Depth=1
	ds_load_b32 v13, v6 offset:32
	s_waitcnt lgkmcnt(0)
	v_add_f32_e32 v2, v2, v13
.LBB44_10:                              ;   in Loop: Header=BB44_2 Depth=1
	s_or_b32 exec_lo, exec_lo, s3
	s_delay_alu instid0(SALU_CYCLE_1)
	s_mov_b32 s3, exec_lo
	; wave barrier
	ds_store_b32 v6, v2
	; wave barrier
	v_cmpx_le_u32_e64 v10, v12
	s_cbranch_execz .LBB44_1
; %bb.11:                               ;   in Loop: Header=BB44_2 Depth=1
	ds_load_b32 v12, v6 offset:64
	s_waitcnt lgkmcnt(0)
	v_add_f32_e32 v2, v2, v12
	s_branch .LBB44_1
.LBB44_12:
	v_add_co_u32 v0, vcc_lo, s0, v0
	v_add_co_ci_u32_e32 v1, vcc_lo, s1, v1, vcc_lo
	global_store_b32 v[0:1], v2, off
	s_nop 0
	s_sendmsg sendmsg(MSG_DEALLOC_VGPRS)
	s_endpgm
	.section	.rodata,"a",@progbits
	.p2align	6, 0x0
	.amdhsa_kernel _Z28segmented_warp_reduce_kernelIfhLj31ELj100EENSt9enable_ifIXsr15benchmark_utilsE35device_test_enabled_for_warp_size_vIXT1_EEEvE4typeEPKT_PT0_PS3_
		.amdhsa_group_segment_fixed_size 124
		.amdhsa_private_segment_fixed_size 0
		.amdhsa_kernarg_size 280
		.amdhsa_user_sgpr_count 15
		.amdhsa_user_sgpr_dispatch_ptr 0
		.amdhsa_user_sgpr_queue_ptr 0
		.amdhsa_user_sgpr_kernarg_segment_ptr 1
		.amdhsa_user_sgpr_dispatch_id 0
		.amdhsa_user_sgpr_private_segment_size 0
		.amdhsa_wavefront_size32 1
		.amdhsa_uses_dynamic_stack 0
		.amdhsa_enable_private_segment 0
		.amdhsa_system_sgpr_workgroup_id_x 1
		.amdhsa_system_sgpr_workgroup_id_y 0
		.amdhsa_system_sgpr_workgroup_id_z 0
		.amdhsa_system_sgpr_workgroup_info 0
		.amdhsa_system_vgpr_workitem_id 0
		.amdhsa_next_free_vgpr 14
		.amdhsa_next_free_sgpr 16
		.amdhsa_reserve_vcc 1
		.amdhsa_float_round_mode_32 0
		.amdhsa_float_round_mode_16_64 0
		.amdhsa_float_denorm_mode_32 3
		.amdhsa_float_denorm_mode_16_64 3
		.amdhsa_dx10_clamp 1
		.amdhsa_ieee_mode 1
		.amdhsa_fp16_overflow 0
		.amdhsa_workgroup_processor_mode 1
		.amdhsa_memory_ordered 1
		.amdhsa_forward_progress 0
		.amdhsa_shared_vgpr_count 0
		.amdhsa_exception_fp_ieee_invalid_op 0
		.amdhsa_exception_fp_denorm_src 0
		.amdhsa_exception_fp_ieee_div_zero 0
		.amdhsa_exception_fp_ieee_overflow 0
		.amdhsa_exception_fp_ieee_underflow 0
		.amdhsa_exception_fp_ieee_inexact 0
		.amdhsa_exception_int_div_zero 0
	.end_amdhsa_kernel
	.section	.text._Z28segmented_warp_reduce_kernelIfhLj31ELj100EENSt9enable_ifIXsr15benchmark_utilsE35device_test_enabled_for_warp_size_vIXT1_EEEvE4typeEPKT_PT0_PS3_,"axG",@progbits,_Z28segmented_warp_reduce_kernelIfhLj31ELj100EENSt9enable_ifIXsr15benchmark_utilsE35device_test_enabled_for_warp_size_vIXT1_EEEvE4typeEPKT_PT0_PS3_,comdat
.Lfunc_end44:
	.size	_Z28segmented_warp_reduce_kernelIfhLj31ELj100EENSt9enable_ifIXsr15benchmark_utilsE35device_test_enabled_for_warp_size_vIXT1_EEEvE4typeEPKT_PT0_PS3_, .Lfunc_end44-_Z28segmented_warp_reduce_kernelIfhLj31ELj100EENSt9enable_ifIXsr15benchmark_utilsE35device_test_enabled_for_warp_size_vIXT1_EEEvE4typeEPKT_PT0_PS3_
                                        ; -- End function
	.section	.AMDGPU.csdata,"",@progbits
; Kernel info:
; codeLenInByte = 508
; NumSgprs: 18
; NumVgprs: 14
; ScratchSize: 0
; MemoryBound: 0
; FloatMode: 240
; IeeeMode: 1
; LDSByteSize: 124 bytes/workgroup (compile time only)
; SGPRBlocks: 2
; VGPRBlocks: 1
; NumSGPRsForWavesPerEU: 18
; NumVGPRsForWavesPerEU: 14
; Occupancy: 16
; WaveLimiterHint : 0
; COMPUTE_PGM_RSRC2:SCRATCH_EN: 0
; COMPUTE_PGM_RSRC2:USER_SGPR: 15
; COMPUTE_PGM_RSRC2:TRAP_HANDLER: 0
; COMPUTE_PGM_RSRC2:TGID_X_EN: 1
; COMPUTE_PGM_RSRC2:TGID_Y_EN: 0
; COMPUTE_PGM_RSRC2:TGID_Z_EN: 0
; COMPUTE_PGM_RSRC2:TIDIG_COMP_CNT: 0
	.section	.text._Z28segmented_warp_reduce_kernelIfhLj32ELj100EENSt9enable_ifIXsr15benchmark_utilsE35device_test_enabled_for_warp_size_vIXT1_EEEvE4typeEPKT_PT0_PS3_,"axG",@progbits,_Z28segmented_warp_reduce_kernelIfhLj32ELj100EENSt9enable_ifIXsr15benchmark_utilsE35device_test_enabled_for_warp_size_vIXT1_EEEvE4typeEPKT_PT0_PS3_,comdat
	.protected	_Z28segmented_warp_reduce_kernelIfhLj32ELj100EENSt9enable_ifIXsr15benchmark_utilsE35device_test_enabled_for_warp_size_vIXT1_EEEvE4typeEPKT_PT0_PS3_ ; -- Begin function _Z28segmented_warp_reduce_kernelIfhLj32ELj100EENSt9enable_ifIXsr15benchmark_utilsE35device_test_enabled_for_warp_size_vIXT1_EEEvE4typeEPKT_PT0_PS3_
	.globl	_Z28segmented_warp_reduce_kernelIfhLj32ELj100EENSt9enable_ifIXsr15benchmark_utilsE35device_test_enabled_for_warp_size_vIXT1_EEEvE4typeEPKT_PT0_PS3_
	.p2align	8
	.type	_Z28segmented_warp_reduce_kernelIfhLj32ELj100EENSt9enable_ifIXsr15benchmark_utilsE35device_test_enabled_for_warp_size_vIXT1_EEEvE4typeEPKT_PT0_PS3_,@function
_Z28segmented_warp_reduce_kernelIfhLj32ELj100EENSt9enable_ifIXsr15benchmark_utilsE35device_test_enabled_for_warp_size_vIXT1_EEEvE4typeEPKT_PT0_PS3_: ; @_Z28segmented_warp_reduce_kernelIfhLj32ELj100EENSt9enable_ifIXsr15benchmark_utilsE35device_test_enabled_for_warp_size_vIXT1_EEEvE4typeEPKT_PT0_PS3_
; %bb.0:
	s_clause 0x1
	s_load_b32 s2, s[0:1], 0x24
	s_load_b128 s[8:11], s[0:1], 0x0
	v_mbcnt_lo_u32_b32 v7, -1, 0
	s_load_b64 s[4:5], s[0:1], 0x10
	s_movk_i32 s6, 0x64
	s_delay_alu instid0(VALU_DEP_1)
	v_cmp_gt_u32_e64 s0, 16, v7
	v_lshlrev_b32_e64 v5, v7, -1
	v_add_nc_u32_e32 v8, 1, v7
	v_add_nc_u32_e32 v11, 4, v7
	;; [unrolled: 1-line block ×5, first 2 shown]
	s_waitcnt lgkmcnt(0)
	s_and_b32 s2, s2, 0xffff
	s_delay_alu instid0(SALU_CYCLE_1) | instskip(SKIP_3) | instid1(VALU_DEP_1)
	v_mad_u64_u32 v[1:2], null, s15, s2, v[0:1]
	v_mov_b32_e32 v2, 0
	global_load_u8 v4, v1, s[10:11]
	v_lshlrev_b64 v[0:1], 2, v[1:2]
	v_add_co_u32 v2, vcc_lo, s8, v0
	s_delay_alu instid0(VALU_DEP_2) | instskip(SKIP_4) | instid1(VALU_DEP_2)
	v_add_co_ci_u32_e32 v3, vcc_lo, s9, v1, vcc_lo
	v_cmp_ne_u32_e32 vcc_lo, 31, v7
	global_load_b32 v2, v[2:3], off
	v_add_co_ci_u32_e32 v3, vcc_lo, 0, v7, vcc_lo
	v_cmp_gt_u32_e32 vcc_lo, 30, v7
	v_lshlrev_b32_e32 v3, 2, v3
	v_cndmask_b32_e64 v6, 0, 1, vcc_lo
	s_delay_alu instid0(VALU_DEP_1)
	v_lshlrev_b32_e32 v6, 1, v6
	s_waitcnt vmcnt(1)
	v_cmp_ne_u16_e32 vcc_lo, 0, v4
	v_cndmask_b32_e64 v4, 0, 1, vcc_lo
	v_cmp_gt_u32_e32 vcc_lo, 28, v7
	v_cndmask_b32_e64 v10, 0, 1, vcc_lo
	v_cmp_gt_u32_e32 vcc_lo, 24, v7
	s_delay_alu instid0(VALU_DEP_2) | instskip(SKIP_3) | instid1(VALU_DEP_3)
	v_lshlrev_b32_e32 v10, 2, v10
	v_cndmask_b32_e64 v12, 0, 1, vcc_lo
	v_cmp_ne_u32_e32 vcc_lo, 0, v4
	v_cndmask_b32_e64 v4, 0, 1, s0
	v_lshlrev_b32_e32 v12, 3, v12
	s_lshr_b32 s0, vcc_lo, 1
	s_delay_alu instid0(VALU_DEP_2) | instskip(SKIP_3) | instid1(VALU_DEP_3)
	v_lshlrev_b32_e32 v15, 4, v4
	v_and_or_b32 v5, v5, s0, 0x80000000
	v_add_lshl_u32 v4, v6, v7, 2
	v_add_lshl_u32 v6, v12, v7, 2
	v_ctz_i32_b32_e32 v16, v5
	v_add_lshl_u32 v5, v10, v7, 2
	v_add_lshl_u32 v7, v15, v7, 2
	s_delay_alu instid0(VALU_DEP_3)
	v_cmp_gt_u32_e32 vcc_lo, v8, v16
	v_cmp_gt_u32_e64 s0, v9, v16
	v_cmp_gt_u32_e64 s1, v11, v16
	v_cmp_gt_u32_e64 s2, v13, v16
	v_cmp_gt_u32_e64 s3, v14, v16
	.p2align	6
.LBB45_1:                               ; =>This Inner Loop Header: Depth=1
	s_waitcnt vmcnt(0)
	ds_bpermute_b32 v8, v3, v2
	s_add_i32 s6, s6, -1
	s_delay_alu instid0(SALU_CYCLE_1) | instskip(SKIP_2) | instid1(VALU_DEP_1)
	s_cmp_eq_u32 s6, 0
	s_waitcnt lgkmcnt(0)
	v_add_f32_e32 v8, v2, v8
	v_cndmask_b32_e32 v2, v8, v2, vcc_lo
	ds_bpermute_b32 v8, v4, v2
	s_waitcnt lgkmcnt(0)
	v_add_f32_e32 v8, v2, v8
	s_delay_alu instid0(VALU_DEP_1) | instskip(SKIP_3) | instid1(VALU_DEP_1)
	v_cndmask_b32_e64 v2, v8, v2, s0
	ds_bpermute_b32 v8, v5, v2
	s_waitcnt lgkmcnt(0)
	v_add_f32_e32 v8, v2, v8
	v_cndmask_b32_e64 v2, v8, v2, s1
	ds_bpermute_b32 v8, v6, v2
	s_waitcnt lgkmcnt(0)
	v_add_f32_e32 v8, v2, v8
	s_delay_alu instid0(VALU_DEP_1) | instskip(SKIP_3) | instid1(VALU_DEP_1)
	v_cndmask_b32_e64 v2, v8, v2, s2
	ds_bpermute_b32 v8, v7, v2
	s_waitcnt lgkmcnt(0)
	v_add_f32_e32 v8, v2, v8
	v_cndmask_b32_e64 v2, v8, v2, s3
	s_cbranch_scc0 .LBB45_1
; %bb.2:
	v_add_co_u32 v0, vcc_lo, s4, v0
	v_add_co_ci_u32_e32 v1, vcc_lo, s5, v1, vcc_lo
	global_store_b32 v[0:1], v2, off
	s_nop 0
	s_sendmsg sendmsg(MSG_DEALLOC_VGPRS)
	s_endpgm
	.section	.rodata,"a",@progbits
	.p2align	6, 0x0
	.amdhsa_kernel _Z28segmented_warp_reduce_kernelIfhLj32ELj100EENSt9enable_ifIXsr15benchmark_utilsE35device_test_enabled_for_warp_size_vIXT1_EEEvE4typeEPKT_PT0_PS3_
		.amdhsa_group_segment_fixed_size 0
		.amdhsa_private_segment_fixed_size 0
		.amdhsa_kernarg_size 280
		.amdhsa_user_sgpr_count 15
		.amdhsa_user_sgpr_dispatch_ptr 0
		.amdhsa_user_sgpr_queue_ptr 0
		.amdhsa_user_sgpr_kernarg_segment_ptr 1
		.amdhsa_user_sgpr_dispatch_id 0
		.amdhsa_user_sgpr_private_segment_size 0
		.amdhsa_wavefront_size32 1
		.amdhsa_uses_dynamic_stack 0
		.amdhsa_enable_private_segment 0
		.amdhsa_system_sgpr_workgroup_id_x 1
		.amdhsa_system_sgpr_workgroup_id_y 0
		.amdhsa_system_sgpr_workgroup_id_z 0
		.amdhsa_system_sgpr_workgroup_info 0
		.amdhsa_system_vgpr_workitem_id 0
		.amdhsa_next_free_vgpr 17
		.amdhsa_next_free_sgpr 16
		.amdhsa_reserve_vcc 1
		.amdhsa_float_round_mode_32 0
		.amdhsa_float_round_mode_16_64 0
		.amdhsa_float_denorm_mode_32 3
		.amdhsa_float_denorm_mode_16_64 3
		.amdhsa_dx10_clamp 1
		.amdhsa_ieee_mode 1
		.amdhsa_fp16_overflow 0
		.amdhsa_workgroup_processor_mode 1
		.amdhsa_memory_ordered 1
		.amdhsa_forward_progress 0
		.amdhsa_shared_vgpr_count 0
		.amdhsa_exception_fp_ieee_invalid_op 0
		.amdhsa_exception_fp_denorm_src 0
		.amdhsa_exception_fp_ieee_div_zero 0
		.amdhsa_exception_fp_ieee_overflow 0
		.amdhsa_exception_fp_ieee_underflow 0
		.amdhsa_exception_fp_ieee_inexact 0
		.amdhsa_exception_int_div_zero 0
	.end_amdhsa_kernel
	.section	.text._Z28segmented_warp_reduce_kernelIfhLj32ELj100EENSt9enable_ifIXsr15benchmark_utilsE35device_test_enabled_for_warp_size_vIXT1_EEEvE4typeEPKT_PT0_PS3_,"axG",@progbits,_Z28segmented_warp_reduce_kernelIfhLj32ELj100EENSt9enable_ifIXsr15benchmark_utilsE35device_test_enabled_for_warp_size_vIXT1_EEEvE4typeEPKT_PT0_PS3_,comdat
.Lfunc_end45:
	.size	_Z28segmented_warp_reduce_kernelIfhLj32ELj100EENSt9enable_ifIXsr15benchmark_utilsE35device_test_enabled_for_warp_size_vIXT1_EEEvE4typeEPKT_PT0_PS3_, .Lfunc_end45-_Z28segmented_warp_reduce_kernelIfhLj32ELj100EENSt9enable_ifIXsr15benchmark_utilsE35device_test_enabled_for_warp_size_vIXT1_EEEvE4typeEPKT_PT0_PS3_
                                        ; -- End function
	.section	.AMDGPU.csdata,"",@progbits
; Kernel info:
; codeLenInByte = 520
; NumSgprs: 18
; NumVgprs: 17
; ScratchSize: 0
; MemoryBound: 0
; FloatMode: 240
; IeeeMode: 1
; LDSByteSize: 0 bytes/workgroup (compile time only)
; SGPRBlocks: 2
; VGPRBlocks: 2
; NumSGPRsForWavesPerEU: 18
; NumVGPRsForWavesPerEU: 17
; Occupancy: 16
; WaveLimiterHint : 0
; COMPUTE_PGM_RSRC2:SCRATCH_EN: 0
; COMPUTE_PGM_RSRC2:USER_SGPR: 15
; COMPUTE_PGM_RSRC2:TRAP_HANDLER: 0
; COMPUTE_PGM_RSRC2:TGID_X_EN: 1
; COMPUTE_PGM_RSRC2:TGID_Y_EN: 0
; COMPUTE_PGM_RSRC2:TGID_Z_EN: 0
; COMPUTE_PGM_RSRC2:TIDIG_COMP_CNT: 0
	.section	.text._Z28segmented_warp_reduce_kernelIfhLj37ELj100EENSt9enable_ifIXntsr15benchmark_utilsE35device_test_enabled_for_warp_size_vIXT1_EEEvE4typeEPKT_PT0_PS3_,"axG",@progbits,_Z28segmented_warp_reduce_kernelIfhLj37ELj100EENSt9enable_ifIXntsr15benchmark_utilsE35device_test_enabled_for_warp_size_vIXT1_EEEvE4typeEPKT_PT0_PS3_,comdat
	.protected	_Z28segmented_warp_reduce_kernelIfhLj37ELj100EENSt9enable_ifIXntsr15benchmark_utilsE35device_test_enabled_for_warp_size_vIXT1_EEEvE4typeEPKT_PT0_PS3_ ; -- Begin function _Z28segmented_warp_reduce_kernelIfhLj37ELj100EENSt9enable_ifIXntsr15benchmark_utilsE35device_test_enabled_for_warp_size_vIXT1_EEEvE4typeEPKT_PT0_PS3_
	.globl	_Z28segmented_warp_reduce_kernelIfhLj37ELj100EENSt9enable_ifIXntsr15benchmark_utilsE35device_test_enabled_for_warp_size_vIXT1_EEEvE4typeEPKT_PT0_PS3_
	.p2align	8
	.type	_Z28segmented_warp_reduce_kernelIfhLj37ELj100EENSt9enable_ifIXntsr15benchmark_utilsE35device_test_enabled_for_warp_size_vIXT1_EEEvE4typeEPKT_PT0_PS3_,@function
_Z28segmented_warp_reduce_kernelIfhLj37ELj100EENSt9enable_ifIXntsr15benchmark_utilsE35device_test_enabled_for_warp_size_vIXT1_EEEvE4typeEPKT_PT0_PS3_: ; @_Z28segmented_warp_reduce_kernelIfhLj37ELj100EENSt9enable_ifIXntsr15benchmark_utilsE35device_test_enabled_for_warp_size_vIXT1_EEEvE4typeEPKT_PT0_PS3_
; %bb.0:
	s_endpgm
	.section	.rodata,"a",@progbits
	.p2align	6, 0x0
	.amdhsa_kernel _Z28segmented_warp_reduce_kernelIfhLj37ELj100EENSt9enable_ifIXntsr15benchmark_utilsE35device_test_enabled_for_warp_size_vIXT1_EEEvE4typeEPKT_PT0_PS3_
		.amdhsa_group_segment_fixed_size 0
		.amdhsa_private_segment_fixed_size 0
		.amdhsa_kernarg_size 24
		.amdhsa_user_sgpr_count 15
		.amdhsa_user_sgpr_dispatch_ptr 0
		.amdhsa_user_sgpr_queue_ptr 0
		.amdhsa_user_sgpr_kernarg_segment_ptr 1
		.amdhsa_user_sgpr_dispatch_id 0
		.amdhsa_user_sgpr_private_segment_size 0
		.amdhsa_wavefront_size32 1
		.amdhsa_uses_dynamic_stack 0
		.amdhsa_enable_private_segment 0
		.amdhsa_system_sgpr_workgroup_id_x 1
		.amdhsa_system_sgpr_workgroup_id_y 0
		.amdhsa_system_sgpr_workgroup_id_z 0
		.amdhsa_system_sgpr_workgroup_info 0
		.amdhsa_system_vgpr_workitem_id 0
		.amdhsa_next_free_vgpr 1
		.amdhsa_next_free_sgpr 1
		.amdhsa_reserve_vcc 0
		.amdhsa_float_round_mode_32 0
		.amdhsa_float_round_mode_16_64 0
		.amdhsa_float_denorm_mode_32 3
		.amdhsa_float_denorm_mode_16_64 3
		.amdhsa_dx10_clamp 1
		.amdhsa_ieee_mode 1
		.amdhsa_fp16_overflow 0
		.amdhsa_workgroup_processor_mode 1
		.amdhsa_memory_ordered 1
		.amdhsa_forward_progress 0
		.amdhsa_shared_vgpr_count 0
		.amdhsa_exception_fp_ieee_invalid_op 0
		.amdhsa_exception_fp_denorm_src 0
		.amdhsa_exception_fp_ieee_div_zero 0
		.amdhsa_exception_fp_ieee_overflow 0
		.amdhsa_exception_fp_ieee_underflow 0
		.amdhsa_exception_fp_ieee_inexact 0
		.amdhsa_exception_int_div_zero 0
	.end_amdhsa_kernel
	.section	.text._Z28segmented_warp_reduce_kernelIfhLj37ELj100EENSt9enable_ifIXntsr15benchmark_utilsE35device_test_enabled_for_warp_size_vIXT1_EEEvE4typeEPKT_PT0_PS3_,"axG",@progbits,_Z28segmented_warp_reduce_kernelIfhLj37ELj100EENSt9enable_ifIXntsr15benchmark_utilsE35device_test_enabled_for_warp_size_vIXT1_EEEvE4typeEPKT_PT0_PS3_,comdat
.Lfunc_end46:
	.size	_Z28segmented_warp_reduce_kernelIfhLj37ELj100EENSt9enable_ifIXntsr15benchmark_utilsE35device_test_enabled_for_warp_size_vIXT1_EEEvE4typeEPKT_PT0_PS3_, .Lfunc_end46-_Z28segmented_warp_reduce_kernelIfhLj37ELj100EENSt9enable_ifIXntsr15benchmark_utilsE35device_test_enabled_for_warp_size_vIXT1_EEEvE4typeEPKT_PT0_PS3_
                                        ; -- End function
	.section	.AMDGPU.csdata,"",@progbits
; Kernel info:
; codeLenInByte = 4
; NumSgprs: 0
; NumVgprs: 0
; ScratchSize: 0
; MemoryBound: 0
; FloatMode: 240
; IeeeMode: 1
; LDSByteSize: 0 bytes/workgroup (compile time only)
; SGPRBlocks: 0
; VGPRBlocks: 0
; NumSGPRsForWavesPerEU: 1
; NumVGPRsForWavesPerEU: 1
; Occupancy: 16
; WaveLimiterHint : 0
; COMPUTE_PGM_RSRC2:SCRATCH_EN: 0
; COMPUTE_PGM_RSRC2:USER_SGPR: 15
; COMPUTE_PGM_RSRC2:TRAP_HANDLER: 0
; COMPUTE_PGM_RSRC2:TGID_X_EN: 1
; COMPUTE_PGM_RSRC2:TGID_Y_EN: 0
; COMPUTE_PGM_RSRC2:TGID_Z_EN: 0
; COMPUTE_PGM_RSRC2:TIDIG_COMP_CNT: 0
	.section	.text._Z28segmented_warp_reduce_kernelIfhLj61ELj100EENSt9enable_ifIXntsr15benchmark_utilsE35device_test_enabled_for_warp_size_vIXT1_EEEvE4typeEPKT_PT0_PS3_,"axG",@progbits,_Z28segmented_warp_reduce_kernelIfhLj61ELj100EENSt9enable_ifIXntsr15benchmark_utilsE35device_test_enabled_for_warp_size_vIXT1_EEEvE4typeEPKT_PT0_PS3_,comdat
	.protected	_Z28segmented_warp_reduce_kernelIfhLj61ELj100EENSt9enable_ifIXntsr15benchmark_utilsE35device_test_enabled_for_warp_size_vIXT1_EEEvE4typeEPKT_PT0_PS3_ ; -- Begin function _Z28segmented_warp_reduce_kernelIfhLj61ELj100EENSt9enable_ifIXntsr15benchmark_utilsE35device_test_enabled_for_warp_size_vIXT1_EEEvE4typeEPKT_PT0_PS3_
	.globl	_Z28segmented_warp_reduce_kernelIfhLj61ELj100EENSt9enable_ifIXntsr15benchmark_utilsE35device_test_enabled_for_warp_size_vIXT1_EEEvE4typeEPKT_PT0_PS3_
	.p2align	8
	.type	_Z28segmented_warp_reduce_kernelIfhLj61ELj100EENSt9enable_ifIXntsr15benchmark_utilsE35device_test_enabled_for_warp_size_vIXT1_EEEvE4typeEPKT_PT0_PS3_,@function
_Z28segmented_warp_reduce_kernelIfhLj61ELj100EENSt9enable_ifIXntsr15benchmark_utilsE35device_test_enabled_for_warp_size_vIXT1_EEEvE4typeEPKT_PT0_PS3_: ; @_Z28segmented_warp_reduce_kernelIfhLj61ELj100EENSt9enable_ifIXntsr15benchmark_utilsE35device_test_enabled_for_warp_size_vIXT1_EEEvE4typeEPKT_PT0_PS3_
; %bb.0:
	s_endpgm
	.section	.rodata,"a",@progbits
	.p2align	6, 0x0
	.amdhsa_kernel _Z28segmented_warp_reduce_kernelIfhLj61ELj100EENSt9enable_ifIXntsr15benchmark_utilsE35device_test_enabled_for_warp_size_vIXT1_EEEvE4typeEPKT_PT0_PS3_
		.amdhsa_group_segment_fixed_size 0
		.amdhsa_private_segment_fixed_size 0
		.amdhsa_kernarg_size 24
		.amdhsa_user_sgpr_count 15
		.amdhsa_user_sgpr_dispatch_ptr 0
		.amdhsa_user_sgpr_queue_ptr 0
		.amdhsa_user_sgpr_kernarg_segment_ptr 1
		.amdhsa_user_sgpr_dispatch_id 0
		.amdhsa_user_sgpr_private_segment_size 0
		.amdhsa_wavefront_size32 1
		.amdhsa_uses_dynamic_stack 0
		.amdhsa_enable_private_segment 0
		.amdhsa_system_sgpr_workgroup_id_x 1
		.amdhsa_system_sgpr_workgroup_id_y 0
		.amdhsa_system_sgpr_workgroup_id_z 0
		.amdhsa_system_sgpr_workgroup_info 0
		.amdhsa_system_vgpr_workitem_id 0
		.amdhsa_next_free_vgpr 1
		.amdhsa_next_free_sgpr 1
		.amdhsa_reserve_vcc 0
		.amdhsa_float_round_mode_32 0
		.amdhsa_float_round_mode_16_64 0
		.amdhsa_float_denorm_mode_32 3
		.amdhsa_float_denorm_mode_16_64 3
		.amdhsa_dx10_clamp 1
		.amdhsa_ieee_mode 1
		.amdhsa_fp16_overflow 0
		.amdhsa_workgroup_processor_mode 1
		.amdhsa_memory_ordered 1
		.amdhsa_forward_progress 0
		.amdhsa_shared_vgpr_count 0
		.amdhsa_exception_fp_ieee_invalid_op 0
		.amdhsa_exception_fp_denorm_src 0
		.amdhsa_exception_fp_ieee_div_zero 0
		.amdhsa_exception_fp_ieee_overflow 0
		.amdhsa_exception_fp_ieee_underflow 0
		.amdhsa_exception_fp_ieee_inexact 0
		.amdhsa_exception_int_div_zero 0
	.end_amdhsa_kernel
	.section	.text._Z28segmented_warp_reduce_kernelIfhLj61ELj100EENSt9enable_ifIXntsr15benchmark_utilsE35device_test_enabled_for_warp_size_vIXT1_EEEvE4typeEPKT_PT0_PS3_,"axG",@progbits,_Z28segmented_warp_reduce_kernelIfhLj61ELj100EENSt9enable_ifIXntsr15benchmark_utilsE35device_test_enabled_for_warp_size_vIXT1_EEEvE4typeEPKT_PT0_PS3_,comdat
.Lfunc_end47:
	.size	_Z28segmented_warp_reduce_kernelIfhLj61ELj100EENSt9enable_ifIXntsr15benchmark_utilsE35device_test_enabled_for_warp_size_vIXT1_EEEvE4typeEPKT_PT0_PS3_, .Lfunc_end47-_Z28segmented_warp_reduce_kernelIfhLj61ELj100EENSt9enable_ifIXntsr15benchmark_utilsE35device_test_enabled_for_warp_size_vIXT1_EEEvE4typeEPKT_PT0_PS3_
                                        ; -- End function
	.section	.AMDGPU.csdata,"",@progbits
; Kernel info:
; codeLenInByte = 4
; NumSgprs: 0
; NumVgprs: 0
; ScratchSize: 0
; MemoryBound: 0
; FloatMode: 240
; IeeeMode: 1
; LDSByteSize: 0 bytes/workgroup (compile time only)
; SGPRBlocks: 0
; VGPRBlocks: 0
; NumSGPRsForWavesPerEU: 1
; NumVGPRsForWavesPerEU: 1
; Occupancy: 16
; WaveLimiterHint : 0
; COMPUTE_PGM_RSRC2:SCRATCH_EN: 0
; COMPUTE_PGM_RSRC2:USER_SGPR: 15
; COMPUTE_PGM_RSRC2:TRAP_HANDLER: 0
; COMPUTE_PGM_RSRC2:TGID_X_EN: 1
; COMPUTE_PGM_RSRC2:TGID_Y_EN: 0
; COMPUTE_PGM_RSRC2:TGID_Z_EN: 0
; COMPUTE_PGM_RSRC2:TIDIG_COMP_CNT: 0
	.section	.text._Z28segmented_warp_reduce_kernelIfhLj64ELj100EENSt9enable_ifIXntsr15benchmark_utilsE35device_test_enabled_for_warp_size_vIXT1_EEEvE4typeEPKT_PT0_PS3_,"axG",@progbits,_Z28segmented_warp_reduce_kernelIfhLj64ELj100EENSt9enable_ifIXntsr15benchmark_utilsE35device_test_enabled_for_warp_size_vIXT1_EEEvE4typeEPKT_PT0_PS3_,comdat
	.protected	_Z28segmented_warp_reduce_kernelIfhLj64ELj100EENSt9enable_ifIXntsr15benchmark_utilsE35device_test_enabled_for_warp_size_vIXT1_EEEvE4typeEPKT_PT0_PS3_ ; -- Begin function _Z28segmented_warp_reduce_kernelIfhLj64ELj100EENSt9enable_ifIXntsr15benchmark_utilsE35device_test_enabled_for_warp_size_vIXT1_EEEvE4typeEPKT_PT0_PS3_
	.globl	_Z28segmented_warp_reduce_kernelIfhLj64ELj100EENSt9enable_ifIXntsr15benchmark_utilsE35device_test_enabled_for_warp_size_vIXT1_EEEvE4typeEPKT_PT0_PS3_
	.p2align	8
	.type	_Z28segmented_warp_reduce_kernelIfhLj64ELj100EENSt9enable_ifIXntsr15benchmark_utilsE35device_test_enabled_for_warp_size_vIXT1_EEEvE4typeEPKT_PT0_PS3_,@function
_Z28segmented_warp_reduce_kernelIfhLj64ELj100EENSt9enable_ifIXntsr15benchmark_utilsE35device_test_enabled_for_warp_size_vIXT1_EEEvE4typeEPKT_PT0_PS3_: ; @_Z28segmented_warp_reduce_kernelIfhLj64ELj100EENSt9enable_ifIXntsr15benchmark_utilsE35device_test_enabled_for_warp_size_vIXT1_EEEvE4typeEPKT_PT0_PS3_
; %bb.0:
	s_endpgm
	.section	.rodata,"a",@progbits
	.p2align	6, 0x0
	.amdhsa_kernel _Z28segmented_warp_reduce_kernelIfhLj64ELj100EENSt9enable_ifIXntsr15benchmark_utilsE35device_test_enabled_for_warp_size_vIXT1_EEEvE4typeEPKT_PT0_PS3_
		.amdhsa_group_segment_fixed_size 0
		.amdhsa_private_segment_fixed_size 0
		.amdhsa_kernarg_size 24
		.amdhsa_user_sgpr_count 15
		.amdhsa_user_sgpr_dispatch_ptr 0
		.amdhsa_user_sgpr_queue_ptr 0
		.amdhsa_user_sgpr_kernarg_segment_ptr 1
		.amdhsa_user_sgpr_dispatch_id 0
		.amdhsa_user_sgpr_private_segment_size 0
		.amdhsa_wavefront_size32 1
		.amdhsa_uses_dynamic_stack 0
		.amdhsa_enable_private_segment 0
		.amdhsa_system_sgpr_workgroup_id_x 1
		.amdhsa_system_sgpr_workgroup_id_y 0
		.amdhsa_system_sgpr_workgroup_id_z 0
		.amdhsa_system_sgpr_workgroup_info 0
		.amdhsa_system_vgpr_workitem_id 0
		.amdhsa_next_free_vgpr 1
		.amdhsa_next_free_sgpr 1
		.amdhsa_reserve_vcc 0
		.amdhsa_float_round_mode_32 0
		.amdhsa_float_round_mode_16_64 0
		.amdhsa_float_denorm_mode_32 3
		.amdhsa_float_denorm_mode_16_64 3
		.amdhsa_dx10_clamp 1
		.amdhsa_ieee_mode 1
		.amdhsa_fp16_overflow 0
		.amdhsa_workgroup_processor_mode 1
		.amdhsa_memory_ordered 1
		.amdhsa_forward_progress 0
		.amdhsa_shared_vgpr_count 0
		.amdhsa_exception_fp_ieee_invalid_op 0
		.amdhsa_exception_fp_denorm_src 0
		.amdhsa_exception_fp_ieee_div_zero 0
		.amdhsa_exception_fp_ieee_overflow 0
		.amdhsa_exception_fp_ieee_underflow 0
		.amdhsa_exception_fp_ieee_inexact 0
		.amdhsa_exception_int_div_zero 0
	.end_amdhsa_kernel
	.section	.text._Z28segmented_warp_reduce_kernelIfhLj64ELj100EENSt9enable_ifIXntsr15benchmark_utilsE35device_test_enabled_for_warp_size_vIXT1_EEEvE4typeEPKT_PT0_PS3_,"axG",@progbits,_Z28segmented_warp_reduce_kernelIfhLj64ELj100EENSt9enable_ifIXntsr15benchmark_utilsE35device_test_enabled_for_warp_size_vIXT1_EEEvE4typeEPKT_PT0_PS3_,comdat
.Lfunc_end48:
	.size	_Z28segmented_warp_reduce_kernelIfhLj64ELj100EENSt9enable_ifIXntsr15benchmark_utilsE35device_test_enabled_for_warp_size_vIXT1_EEEvE4typeEPKT_PT0_PS3_, .Lfunc_end48-_Z28segmented_warp_reduce_kernelIfhLj64ELj100EENSt9enable_ifIXntsr15benchmark_utilsE35device_test_enabled_for_warp_size_vIXT1_EEEvE4typeEPKT_PT0_PS3_
                                        ; -- End function
	.section	.AMDGPU.csdata,"",@progbits
; Kernel info:
; codeLenInByte = 4
; NumSgprs: 0
; NumVgprs: 0
; ScratchSize: 0
; MemoryBound: 0
; FloatMode: 240
; IeeeMode: 1
; LDSByteSize: 0 bytes/workgroup (compile time only)
; SGPRBlocks: 0
; VGPRBlocks: 0
; NumSGPRsForWavesPerEU: 1
; NumVGPRsForWavesPerEU: 1
; Occupancy: 16
; WaveLimiterHint : 0
; COMPUTE_PGM_RSRC2:SCRATCH_EN: 0
; COMPUTE_PGM_RSRC2:USER_SGPR: 15
; COMPUTE_PGM_RSRC2:TRAP_HANDLER: 0
; COMPUTE_PGM_RSRC2:TGID_X_EN: 1
; COMPUTE_PGM_RSRC2:TGID_Y_EN: 0
; COMPUTE_PGM_RSRC2:TGID_Z_EN: 0
; COMPUTE_PGM_RSRC2:TIDIG_COMP_CNT: 0
	.section	.text._Z28segmented_warp_reduce_kernelIdhLj15ELj100EENSt9enable_ifIXsr15benchmark_utilsE35device_test_enabled_for_warp_size_vIXT1_EEEvE4typeEPKT_PT0_PS3_,"axG",@progbits,_Z28segmented_warp_reduce_kernelIdhLj15ELj100EENSt9enable_ifIXsr15benchmark_utilsE35device_test_enabled_for_warp_size_vIXT1_EEEvE4typeEPKT_PT0_PS3_,comdat
	.protected	_Z28segmented_warp_reduce_kernelIdhLj15ELj100EENSt9enable_ifIXsr15benchmark_utilsE35device_test_enabled_for_warp_size_vIXT1_EEEvE4typeEPKT_PT0_PS3_ ; -- Begin function _Z28segmented_warp_reduce_kernelIdhLj15ELj100EENSt9enable_ifIXsr15benchmark_utilsE35device_test_enabled_for_warp_size_vIXT1_EEEvE4typeEPKT_PT0_PS3_
	.globl	_Z28segmented_warp_reduce_kernelIdhLj15ELj100EENSt9enable_ifIXsr15benchmark_utilsE35device_test_enabled_for_warp_size_vIXT1_EEEvE4typeEPKT_PT0_PS3_
	.p2align	8
	.type	_Z28segmented_warp_reduce_kernelIdhLj15ELj100EENSt9enable_ifIXsr15benchmark_utilsE35device_test_enabled_for_warp_size_vIXT1_EEEvE4typeEPKT_PT0_PS3_,@function
_Z28segmented_warp_reduce_kernelIdhLj15ELj100EENSt9enable_ifIXsr15benchmark_utilsE35device_test_enabled_for_warp_size_vIXT1_EEEvE4typeEPKT_PT0_PS3_: ; @_Z28segmented_warp_reduce_kernelIdhLj15ELj100EENSt9enable_ifIXsr15benchmark_utilsE35device_test_enabled_for_warp_size_vIXT1_EEEvE4typeEPKT_PT0_PS3_
; %bb.0:
	s_clause 0x1
	s_load_b32 s2, s[0:1], 0x24
	s_load_b128 s[4:7], s[0:1], 0x0
	v_mbcnt_lo_u32_b32 v6, -1, 0
	s_load_b64 s[0:1], s[0:1], 0x10
	s_delay_alu instid0(VALU_DEP_1) | instskip(NEXT) | instid1(VALU_DEP_1)
	v_mul_hi_u32 v4, 0x11111112, v6
	v_mul_u32_u24_e32 v4, 15, v4
	s_delay_alu instid0(VALU_DEP_1)
	v_sub_nc_u32_e32 v5, v6, v4
	s_waitcnt lgkmcnt(0)
	s_and_b32 s2, s2, 0xffff
	v_lshlrev_b32_e64 v6, v6, -1
	v_mad_u64_u32 v[2:3], null, s15, s2, v[0:1]
	v_dual_mov_b32 v3, 0 :: v_dual_add_nc_u32 v8, 2, v5
	v_lshlrev_b32_e32 v7, 3, v5
	v_add_nc_u32_e32 v9, 4, v5
	v_add_nc_u32_e32 v10, 8, v5
	s_movk_i32 s2, 0x64
	v_lshlrev_b64 v[0:1], 3, v[2:3]
	global_load_u8 v11, v2, s[6:7]
	v_add_co_u32 v2, vcc_lo, s4, v0
	v_add_co_ci_u32_e32 v3, vcc_lo, s5, v1, vcc_lo
	global_load_b64 v[2:3], v[2:3], off
	s_waitcnt vmcnt(1)
	v_cmp_ne_u16_e32 vcc_lo, 0, v11
	v_cndmask_b32_e64 v11, 0, 1, vcc_lo
	s_branch .LBB49_2
.LBB49_1:                               ;   in Loop: Header=BB49_2 Depth=1
	s_or_b32 exec_lo, exec_lo, s3
	s_add_i32 s2, s2, -1
	s_delay_alu instid0(SALU_CYCLE_1)
	s_cmp_eq_u32 s2, 0
	; wave barrier
	s_cbranch_scc1 .LBB49_10
.LBB49_2:                               ; =>This Inner Loop Header: Depth=1
	s_delay_alu instid0(VALU_DEP_1) | instskip(SKIP_3) | instid1(SALU_CYCLE_1)
	v_cmp_ne_u32_e32 vcc_lo, 0, v11
	s_waitcnt vmcnt(0)
	ds_store_b64 v7, v[2:3]
	; wave barrier
	s_lshr_b32 s3, vcc_lo, 1
	v_and_b32_e32 v12, s3, v6
	s_mov_b32 s3, exec_lo
	s_delay_alu instid0(VALU_DEP_1) | instskip(NEXT) | instid1(VALU_DEP_1)
	v_lshrrev_b32_e32 v12, v4, v12
	v_or_b32_e32 v12, 0x4000, v12
	s_delay_alu instid0(VALU_DEP_1) | instskip(NEXT) | instid1(VALU_DEP_1)
	v_ctz_i32_b32_e32 v12, v12
	v_cmpx_lt_u32_e64 v5, v12
	s_cbranch_execz .LBB49_4
; %bb.3:                                ;   in Loop: Header=BB49_2 Depth=1
	ds_load_b64 v[13:14], v7 offset:8
	s_waitcnt lgkmcnt(0)
	v_add_f64 v[2:3], v[2:3], v[13:14]
.LBB49_4:                               ;   in Loop: Header=BB49_2 Depth=1
	s_or_b32 exec_lo, exec_lo, s3
	s_delay_alu instid0(SALU_CYCLE_1)
	s_mov_b32 s3, exec_lo
	; wave barrier
	ds_store_b64 v7, v[2:3]
	; wave barrier
	v_cmpx_le_u32_e64 v8, v12
	s_cbranch_execz .LBB49_6
; %bb.5:                                ;   in Loop: Header=BB49_2 Depth=1
	ds_load_b64 v[13:14], v7 offset:16
	s_waitcnt lgkmcnt(0)
	v_add_f64 v[2:3], v[2:3], v[13:14]
.LBB49_6:                               ;   in Loop: Header=BB49_2 Depth=1
	s_or_b32 exec_lo, exec_lo, s3
	s_delay_alu instid0(SALU_CYCLE_1)
	s_mov_b32 s3, exec_lo
	; wave barrier
	ds_store_b64 v7, v[2:3]
	; wave barrier
	v_cmpx_le_u32_e64 v9, v12
	;; [unrolled: 13-line block ×3, first 2 shown]
	s_cbranch_execz .LBB49_1
; %bb.9:                                ;   in Loop: Header=BB49_2 Depth=1
	ds_load_b64 v[12:13], v7 offset:64
	s_waitcnt lgkmcnt(0)
	v_add_f64 v[2:3], v[2:3], v[12:13]
	s_branch .LBB49_1
.LBB49_10:
	v_add_co_u32 v0, vcc_lo, s0, v0
	v_add_co_ci_u32_e32 v1, vcc_lo, s1, v1, vcc_lo
	global_store_b64 v[0:1], v[2:3], off
	s_nop 0
	s_sendmsg sendmsg(MSG_DEALLOC_VGPRS)
	s_endpgm
	.section	.rodata,"a",@progbits
	.p2align	6, 0x0
	.amdhsa_kernel _Z28segmented_warp_reduce_kernelIdhLj15ELj100EENSt9enable_ifIXsr15benchmark_utilsE35device_test_enabled_for_warp_size_vIXT1_EEEvE4typeEPKT_PT0_PS3_
		.amdhsa_group_segment_fixed_size 120
		.amdhsa_private_segment_fixed_size 0
		.amdhsa_kernarg_size 280
		.amdhsa_user_sgpr_count 15
		.amdhsa_user_sgpr_dispatch_ptr 0
		.amdhsa_user_sgpr_queue_ptr 0
		.amdhsa_user_sgpr_kernarg_segment_ptr 1
		.amdhsa_user_sgpr_dispatch_id 0
		.amdhsa_user_sgpr_private_segment_size 0
		.amdhsa_wavefront_size32 1
		.amdhsa_uses_dynamic_stack 0
		.amdhsa_enable_private_segment 0
		.amdhsa_system_sgpr_workgroup_id_x 1
		.amdhsa_system_sgpr_workgroup_id_y 0
		.amdhsa_system_sgpr_workgroup_id_z 0
		.amdhsa_system_sgpr_workgroup_info 0
		.amdhsa_system_vgpr_workitem_id 0
		.amdhsa_next_free_vgpr 15
		.amdhsa_next_free_sgpr 16
		.amdhsa_reserve_vcc 1
		.amdhsa_float_round_mode_32 0
		.amdhsa_float_round_mode_16_64 0
		.amdhsa_float_denorm_mode_32 3
		.amdhsa_float_denorm_mode_16_64 3
		.amdhsa_dx10_clamp 1
		.amdhsa_ieee_mode 1
		.amdhsa_fp16_overflow 0
		.amdhsa_workgroup_processor_mode 1
		.amdhsa_memory_ordered 1
		.amdhsa_forward_progress 0
		.amdhsa_shared_vgpr_count 0
		.amdhsa_exception_fp_ieee_invalid_op 0
		.amdhsa_exception_fp_denorm_src 0
		.amdhsa_exception_fp_ieee_div_zero 0
		.amdhsa_exception_fp_ieee_overflow 0
		.amdhsa_exception_fp_ieee_underflow 0
		.amdhsa_exception_fp_ieee_inexact 0
		.amdhsa_exception_int_div_zero 0
	.end_amdhsa_kernel
	.section	.text._Z28segmented_warp_reduce_kernelIdhLj15ELj100EENSt9enable_ifIXsr15benchmark_utilsE35device_test_enabled_for_warp_size_vIXT1_EEEvE4typeEPKT_PT0_PS3_,"axG",@progbits,_Z28segmented_warp_reduce_kernelIdhLj15ELj100EENSt9enable_ifIXsr15benchmark_utilsE35device_test_enabled_for_warp_size_vIXT1_EEEvE4typeEPKT_PT0_PS3_,comdat
.Lfunc_end49:
	.size	_Z28segmented_warp_reduce_kernelIdhLj15ELj100EENSt9enable_ifIXsr15benchmark_utilsE35device_test_enabled_for_warp_size_vIXT1_EEEvE4typeEPKT_PT0_PS3_, .Lfunc_end49-_Z28segmented_warp_reduce_kernelIdhLj15ELj100EENSt9enable_ifIXsr15benchmark_utilsE35device_test_enabled_for_warp_size_vIXT1_EEEvE4typeEPKT_PT0_PS3_
                                        ; -- End function
	.section	.AMDGPU.csdata,"",@progbits
; Kernel info:
; codeLenInByte = 472
; NumSgprs: 18
; NumVgprs: 15
; ScratchSize: 0
; MemoryBound: 0
; FloatMode: 240
; IeeeMode: 1
; LDSByteSize: 120 bytes/workgroup (compile time only)
; SGPRBlocks: 2
; VGPRBlocks: 1
; NumSGPRsForWavesPerEU: 18
; NumVGPRsForWavesPerEU: 15
; Occupancy: 16
; WaveLimiterHint : 0
; COMPUTE_PGM_RSRC2:SCRATCH_EN: 0
; COMPUTE_PGM_RSRC2:USER_SGPR: 15
; COMPUTE_PGM_RSRC2:TRAP_HANDLER: 0
; COMPUTE_PGM_RSRC2:TGID_X_EN: 1
; COMPUTE_PGM_RSRC2:TGID_Y_EN: 0
; COMPUTE_PGM_RSRC2:TGID_Z_EN: 0
; COMPUTE_PGM_RSRC2:TIDIG_COMP_CNT: 0
	.section	.text._Z28segmented_warp_reduce_kernelIdhLj16ELj100EENSt9enable_ifIXsr15benchmark_utilsE35device_test_enabled_for_warp_size_vIXT1_EEEvE4typeEPKT_PT0_PS3_,"axG",@progbits,_Z28segmented_warp_reduce_kernelIdhLj16ELj100EENSt9enable_ifIXsr15benchmark_utilsE35device_test_enabled_for_warp_size_vIXT1_EEEvE4typeEPKT_PT0_PS3_,comdat
	.protected	_Z28segmented_warp_reduce_kernelIdhLj16ELj100EENSt9enable_ifIXsr15benchmark_utilsE35device_test_enabled_for_warp_size_vIXT1_EEEvE4typeEPKT_PT0_PS3_ ; -- Begin function _Z28segmented_warp_reduce_kernelIdhLj16ELj100EENSt9enable_ifIXsr15benchmark_utilsE35device_test_enabled_for_warp_size_vIXT1_EEEvE4typeEPKT_PT0_PS3_
	.globl	_Z28segmented_warp_reduce_kernelIdhLj16ELj100EENSt9enable_ifIXsr15benchmark_utilsE35device_test_enabled_for_warp_size_vIXT1_EEEvE4typeEPKT_PT0_PS3_
	.p2align	8
	.type	_Z28segmented_warp_reduce_kernelIdhLj16ELj100EENSt9enable_ifIXsr15benchmark_utilsE35device_test_enabled_for_warp_size_vIXT1_EEEvE4typeEPKT_PT0_PS3_,@function
_Z28segmented_warp_reduce_kernelIdhLj16ELj100EENSt9enable_ifIXsr15benchmark_utilsE35device_test_enabled_for_warp_size_vIXT1_EEEvE4typeEPKT_PT0_PS3_: ; @_Z28segmented_warp_reduce_kernelIdhLj16ELj100EENSt9enable_ifIXsr15benchmark_utilsE35device_test_enabled_for_warp_size_vIXT1_EEEvE4typeEPKT_PT0_PS3_
; %bb.0:
	s_clause 0x1
	s_load_b32 s2, s[0:1], 0x24
	s_load_b128 s[4:7], s[0:1], 0x0
	v_mbcnt_lo_u32_b32 v5, -1, 0
	s_load_b64 s[0:1], s[0:1], 0x10
	s_delay_alu instid0(VALU_DEP_1) | instskip(SKIP_4) | instid1(SALU_CYCLE_1)
	v_lshlrev_b32_e64 v7, v5, -1
	v_and_b32_e32 v8, 16, v5
	v_and_b32_e32 v6, 15, v5
	s_waitcnt lgkmcnt(0)
	s_and_b32 s2, s2, 0xffff
	v_mad_u64_u32 v[2:3], null, s15, s2, v[0:1]
	v_mov_b32_e32 v3, 0
	s_movk_i32 s2, 0x64
	s_delay_alu instid0(VALU_DEP_1)
	v_lshlrev_b64 v[0:1], 3, v[2:3]
	global_load_u8 v4, v2, s[6:7]
	v_add_co_u32 v2, vcc_lo, s4, v0
	v_add_co_ci_u32_e32 v3, vcc_lo, s5, v1, vcc_lo
	v_cmp_ne_u32_e32 vcc_lo, 15, v6
	global_load_b64 v[2:3], v[2:3], off
	v_add_co_ci_u32_e32 v9, vcc_lo, 0, v5, vcc_lo
	v_cmp_gt_u32_e32 vcc_lo, 14, v6
	s_delay_alu instid0(VALU_DEP_2) | instskip(SKIP_2) | instid1(VALU_DEP_2)
	v_lshlrev_b32_e32 v9, 2, v9
	v_cndmask_b32_e64 v10, 0, 1, vcc_lo
	v_cmp_gt_u32_e32 vcc_lo, 12, v6
	v_lshlrev_b32_e32 v13, 1, v10
	v_cndmask_b32_e64 v11, 0, 1, vcc_lo
	v_cmp_gt_u32_e32 vcc_lo, 8, v6
	v_add_nc_u32_e32 v10, 2, v6
	s_delay_alu instid0(VALU_DEP_3) | instskip(SKIP_2) | instid1(VALU_DEP_3)
	v_lshlrev_b32_e32 v14, 2, v11
	v_cndmask_b32_e64 v12, 0, 1, vcc_lo
	v_add_lshl_u32 v11, v13, v5, 2
	v_add_lshl_u32 v13, v14, v5, 2
	s_delay_alu instid0(VALU_DEP_3) | instskip(SKIP_2) | instid1(VALU_DEP_3)
	v_lshlrev_b32_e32 v15, 3, v12
	v_add_nc_u32_e32 v12, 4, v6
	v_add_nc_u32_e32 v14, 8, v6
	v_add_lshl_u32 v15, v15, v5, 2
	s_waitcnt vmcnt(1)
	v_cmp_ne_u16_e32 vcc_lo, 0, v4
	v_cndmask_b32_e64 v16, 0, 1, vcc_lo
	s_branch .LBB50_2
.LBB50_1:                               ;   in Loop: Header=BB50_2 Depth=1
	s_or_b32 exec_lo, exec_lo, s3
	s_add_i32 s2, s2, -1
	s_delay_alu instid0(SALU_CYCLE_1)
	s_cmp_eq_u32 s2, 0
	s_cbranch_scc1 .LBB50_10
.LBB50_2:                               ; =>This Inner Loop Header: Depth=1
	s_delay_alu instid0(VALU_DEP_1)
	v_cmp_ne_u32_e32 vcc_lo, 0, v16
	s_waitcnt vmcnt(0) lgkmcnt(1)
	ds_bpermute_b32 v4, v9, v2
	s_lshr_b32 s3, vcc_lo, 1
	s_waitcnt lgkmcnt(1)
	v_and_b32_e32 v5, s3, v7
	s_mov_b32 s3, exec_lo
	s_delay_alu instid0(VALU_DEP_1) | instskip(SKIP_2) | instid1(VALU_DEP_1)
	v_lshrrev_b32_e32 v17, v8, v5
	ds_bpermute_b32 v5, v9, v3
	v_or_b32_e32 v17, 0x8000, v17
	v_ctz_i32_b32_e32 v17, v17
	s_delay_alu instid0(VALU_DEP_1)
	v_cmpx_lt_u32_e64 v6, v17
	s_cbranch_execz .LBB50_4
; %bb.3:                                ;   in Loop: Header=BB50_2 Depth=1
	s_waitcnt lgkmcnt(0)
	v_add_f64 v[2:3], v[2:3], v[4:5]
.LBB50_4:                               ;   in Loop: Header=BB50_2 Depth=1
	s_or_b32 exec_lo, exec_lo, s3
	s_waitcnt lgkmcnt(1)
	ds_bpermute_b32 v4, v11, v2
	s_waitcnt lgkmcnt(1)
	ds_bpermute_b32 v5, v11, v3
	s_mov_b32 s3, exec_lo
	v_cmpx_le_u32_e64 v10, v17
	s_cbranch_execz .LBB50_6
; %bb.5:                                ;   in Loop: Header=BB50_2 Depth=1
	s_waitcnt lgkmcnt(0)
	v_add_f64 v[2:3], v[2:3], v[4:5]
.LBB50_6:                               ;   in Loop: Header=BB50_2 Depth=1
	s_or_b32 exec_lo, exec_lo, s3
	s_waitcnt lgkmcnt(1)
	ds_bpermute_b32 v4, v13, v2
	s_waitcnt lgkmcnt(1)
	ds_bpermute_b32 v5, v13, v3
	s_mov_b32 s3, exec_lo
	v_cmpx_le_u32_e64 v12, v17
	;; [unrolled: 12-line block ×3, first 2 shown]
	s_cbranch_execz .LBB50_1
; %bb.9:                                ;   in Loop: Header=BB50_2 Depth=1
	s_waitcnt lgkmcnt(0)
	v_add_f64 v[2:3], v[2:3], v[4:5]
	s_branch .LBB50_1
.LBB50_10:
	v_add_co_u32 v0, vcc_lo, s0, v0
	v_add_co_ci_u32_e32 v1, vcc_lo, s1, v1, vcc_lo
	global_store_b64 v[0:1], v[2:3], off
	s_nop 0
	s_sendmsg sendmsg(MSG_DEALLOC_VGPRS)
	s_endpgm
	.section	.rodata,"a",@progbits
	.p2align	6, 0x0
	.amdhsa_kernel _Z28segmented_warp_reduce_kernelIdhLj16ELj100EENSt9enable_ifIXsr15benchmark_utilsE35device_test_enabled_for_warp_size_vIXT1_EEEvE4typeEPKT_PT0_PS3_
		.amdhsa_group_segment_fixed_size 0
		.amdhsa_private_segment_fixed_size 0
		.amdhsa_kernarg_size 280
		.amdhsa_user_sgpr_count 15
		.amdhsa_user_sgpr_dispatch_ptr 0
		.amdhsa_user_sgpr_queue_ptr 0
		.amdhsa_user_sgpr_kernarg_segment_ptr 1
		.amdhsa_user_sgpr_dispatch_id 0
		.amdhsa_user_sgpr_private_segment_size 0
		.amdhsa_wavefront_size32 1
		.amdhsa_uses_dynamic_stack 0
		.amdhsa_enable_private_segment 0
		.amdhsa_system_sgpr_workgroup_id_x 1
		.amdhsa_system_sgpr_workgroup_id_y 0
		.amdhsa_system_sgpr_workgroup_id_z 0
		.amdhsa_system_sgpr_workgroup_info 0
		.amdhsa_system_vgpr_workitem_id 0
		.amdhsa_next_free_vgpr 18
		.amdhsa_next_free_sgpr 16
		.amdhsa_reserve_vcc 1
		.amdhsa_float_round_mode_32 0
		.amdhsa_float_round_mode_16_64 0
		.amdhsa_float_denorm_mode_32 3
		.amdhsa_float_denorm_mode_16_64 3
		.amdhsa_dx10_clamp 1
		.amdhsa_ieee_mode 1
		.amdhsa_fp16_overflow 0
		.amdhsa_workgroup_processor_mode 1
		.amdhsa_memory_ordered 1
		.amdhsa_forward_progress 0
		.amdhsa_shared_vgpr_count 0
		.amdhsa_exception_fp_ieee_invalid_op 0
		.amdhsa_exception_fp_denorm_src 0
		.amdhsa_exception_fp_ieee_div_zero 0
		.amdhsa_exception_fp_ieee_overflow 0
		.amdhsa_exception_fp_ieee_underflow 0
		.amdhsa_exception_fp_ieee_inexact 0
		.amdhsa_exception_int_div_zero 0
	.end_amdhsa_kernel
	.section	.text._Z28segmented_warp_reduce_kernelIdhLj16ELj100EENSt9enable_ifIXsr15benchmark_utilsE35device_test_enabled_for_warp_size_vIXT1_EEEvE4typeEPKT_PT0_PS3_,"axG",@progbits,_Z28segmented_warp_reduce_kernelIdhLj16ELj100EENSt9enable_ifIXsr15benchmark_utilsE35device_test_enabled_for_warp_size_vIXT1_EEEvE4typeEPKT_PT0_PS3_,comdat
.Lfunc_end50:
	.size	_Z28segmented_warp_reduce_kernelIdhLj16ELj100EENSt9enable_ifIXsr15benchmark_utilsE35device_test_enabled_for_warp_size_vIXT1_EEEvE4typeEPKT_PT0_PS3_, .Lfunc_end50-_Z28segmented_warp_reduce_kernelIdhLj16ELj100EENSt9enable_ifIXsr15benchmark_utilsE35device_test_enabled_for_warp_size_vIXT1_EEEvE4typeEPKT_PT0_PS3_
                                        ; -- End function
	.section	.AMDGPU.csdata,"",@progbits
; Kernel info:
; codeLenInByte = 568
; NumSgprs: 18
; NumVgprs: 18
; ScratchSize: 0
; MemoryBound: 0
; FloatMode: 240
; IeeeMode: 1
; LDSByteSize: 0 bytes/workgroup (compile time only)
; SGPRBlocks: 2
; VGPRBlocks: 2
; NumSGPRsForWavesPerEU: 18
; NumVGPRsForWavesPerEU: 18
; Occupancy: 16
; WaveLimiterHint : 0
; COMPUTE_PGM_RSRC2:SCRATCH_EN: 0
; COMPUTE_PGM_RSRC2:USER_SGPR: 15
; COMPUTE_PGM_RSRC2:TRAP_HANDLER: 0
; COMPUTE_PGM_RSRC2:TGID_X_EN: 1
; COMPUTE_PGM_RSRC2:TGID_Y_EN: 0
; COMPUTE_PGM_RSRC2:TGID_Z_EN: 0
; COMPUTE_PGM_RSRC2:TIDIG_COMP_CNT: 0
	.section	.text._Z28segmented_warp_reduce_kernelIdhLj31ELj100EENSt9enable_ifIXsr15benchmark_utilsE35device_test_enabled_for_warp_size_vIXT1_EEEvE4typeEPKT_PT0_PS3_,"axG",@progbits,_Z28segmented_warp_reduce_kernelIdhLj31ELj100EENSt9enable_ifIXsr15benchmark_utilsE35device_test_enabled_for_warp_size_vIXT1_EEEvE4typeEPKT_PT0_PS3_,comdat
	.protected	_Z28segmented_warp_reduce_kernelIdhLj31ELj100EENSt9enable_ifIXsr15benchmark_utilsE35device_test_enabled_for_warp_size_vIXT1_EEEvE4typeEPKT_PT0_PS3_ ; -- Begin function _Z28segmented_warp_reduce_kernelIdhLj31ELj100EENSt9enable_ifIXsr15benchmark_utilsE35device_test_enabled_for_warp_size_vIXT1_EEEvE4typeEPKT_PT0_PS3_
	.globl	_Z28segmented_warp_reduce_kernelIdhLj31ELj100EENSt9enable_ifIXsr15benchmark_utilsE35device_test_enabled_for_warp_size_vIXT1_EEEvE4typeEPKT_PT0_PS3_
	.p2align	8
	.type	_Z28segmented_warp_reduce_kernelIdhLj31ELj100EENSt9enable_ifIXsr15benchmark_utilsE35device_test_enabled_for_warp_size_vIXT1_EEEvE4typeEPKT_PT0_PS3_,@function
_Z28segmented_warp_reduce_kernelIdhLj31ELj100EENSt9enable_ifIXsr15benchmark_utilsE35device_test_enabled_for_warp_size_vIXT1_EEEvE4typeEPKT_PT0_PS3_: ; @_Z28segmented_warp_reduce_kernelIdhLj31ELj100EENSt9enable_ifIXsr15benchmark_utilsE35device_test_enabled_for_warp_size_vIXT1_EEEvE4typeEPKT_PT0_PS3_
; %bb.0:
	s_clause 0x1
	s_load_b32 s2, s[0:1], 0x24
	s_load_b128 s[4:7], s[0:1], 0x0
	v_mbcnt_lo_u32_b32 v6, -1, 0
	s_load_b64 s[0:1], s[0:1], 0x10
	s_delay_alu instid0(VALU_DEP_1) | instskip(NEXT) | instid1(VALU_DEP_1)
	v_mul_hi_u32 v4, 0x8421085, v6
	v_mul_u32_u24_e32 v4, 31, v4
	s_delay_alu instid0(VALU_DEP_1)
	v_sub_nc_u32_e32 v5, v6, v4
	s_waitcnt lgkmcnt(0)
	s_and_b32 s2, s2, 0xffff
	v_lshlrev_b32_e64 v6, v6, -1
	v_mad_u64_u32 v[2:3], null, s15, s2, v[0:1]
	v_dual_mov_b32 v3, 0 :: v_dual_add_nc_u32 v8, 2, v5
	v_lshlrev_b32_e32 v7, 3, v5
	v_add_nc_u32_e32 v9, 4, v5
	v_add_nc_u32_e32 v10, 8, v5
	;; [unrolled: 1-line block ×3, first 2 shown]
	v_lshlrev_b64 v[0:1], 3, v[2:3]
	global_load_u8 v12, v2, s[6:7]
	s_movk_i32 s2, 0x64
	v_add_co_u32 v2, vcc_lo, s4, v0
	v_add_co_ci_u32_e32 v3, vcc_lo, s5, v1, vcc_lo
	global_load_b64 v[2:3], v[2:3], off
	s_waitcnt vmcnt(1)
	v_cmp_ne_u16_e32 vcc_lo, 0, v12
	v_cndmask_b32_e64 v12, 0, 1, vcc_lo
	s_branch .LBB51_2
.LBB51_1:                               ;   in Loop: Header=BB51_2 Depth=1
	s_or_b32 exec_lo, exec_lo, s3
	s_add_i32 s2, s2, -1
	s_delay_alu instid0(SALU_CYCLE_1)
	s_cmp_eq_u32 s2, 0
	; wave barrier
	s_cbranch_scc1 .LBB51_12
.LBB51_2:                               ; =>This Inner Loop Header: Depth=1
	s_delay_alu instid0(VALU_DEP_1) | instskip(SKIP_3) | instid1(SALU_CYCLE_1)
	v_cmp_ne_u32_e32 vcc_lo, 0, v12
	s_waitcnt vmcnt(0)
	ds_store_b64 v7, v[2:3]
	; wave barrier
	s_lshr_b32 s3, vcc_lo, 1
	v_and_b32_e32 v13, s3, v6
	s_mov_b32 s3, exec_lo
	s_delay_alu instid0(VALU_DEP_1) | instskip(NEXT) | instid1(VALU_DEP_1)
	v_lshrrev_b32_e32 v13, v4, v13
	v_or_b32_e32 v13, 2.0, v13
	s_delay_alu instid0(VALU_DEP_1) | instskip(NEXT) | instid1(VALU_DEP_1)
	v_ctz_i32_b32_e32 v13, v13
	v_cmpx_lt_u32_e64 v5, v13
	s_cbranch_execz .LBB51_4
; %bb.3:                                ;   in Loop: Header=BB51_2 Depth=1
	ds_load_b64 v[14:15], v7 offset:8
	s_waitcnt lgkmcnt(0)
	v_add_f64 v[2:3], v[2:3], v[14:15]
.LBB51_4:                               ;   in Loop: Header=BB51_2 Depth=1
	s_or_b32 exec_lo, exec_lo, s3
	s_delay_alu instid0(SALU_CYCLE_1)
	s_mov_b32 s3, exec_lo
	; wave barrier
	ds_store_b64 v7, v[2:3]
	; wave barrier
	v_cmpx_le_u32_e64 v8, v13
	s_cbranch_execz .LBB51_6
; %bb.5:                                ;   in Loop: Header=BB51_2 Depth=1
	ds_load_b64 v[14:15], v7 offset:16
	s_waitcnt lgkmcnt(0)
	v_add_f64 v[2:3], v[2:3], v[14:15]
.LBB51_6:                               ;   in Loop: Header=BB51_2 Depth=1
	s_or_b32 exec_lo, exec_lo, s3
	s_delay_alu instid0(SALU_CYCLE_1)
	s_mov_b32 s3, exec_lo
	; wave barrier
	ds_store_b64 v7, v[2:3]
	; wave barrier
	v_cmpx_le_u32_e64 v9, v13
	;; [unrolled: 13-line block ×3, first 2 shown]
	s_cbranch_execz .LBB51_10
; %bb.9:                                ;   in Loop: Header=BB51_2 Depth=1
	ds_load_b64 v[14:15], v7 offset:64
	s_waitcnt lgkmcnt(0)
	v_add_f64 v[2:3], v[2:3], v[14:15]
.LBB51_10:                              ;   in Loop: Header=BB51_2 Depth=1
	s_or_b32 exec_lo, exec_lo, s3
	s_delay_alu instid0(SALU_CYCLE_1)
	s_mov_b32 s3, exec_lo
	; wave barrier
	ds_store_b64 v7, v[2:3]
	; wave barrier
	v_cmpx_le_u32_e64 v11, v13
	s_cbranch_execz .LBB51_1
; %bb.11:                               ;   in Loop: Header=BB51_2 Depth=1
	ds_load_b64 v[13:14], v7 offset:128
	s_waitcnt lgkmcnt(0)
	v_add_f64 v[2:3], v[2:3], v[13:14]
	s_branch .LBB51_1
.LBB51_12:
	v_add_co_u32 v0, vcc_lo, s0, v0
	v_add_co_ci_u32_e32 v1, vcc_lo, s1, v1, vcc_lo
	global_store_b64 v[0:1], v[2:3], off
	s_nop 0
	s_sendmsg sendmsg(MSG_DEALLOC_VGPRS)
	s_endpgm
	.section	.rodata,"a",@progbits
	.p2align	6, 0x0
	.amdhsa_kernel _Z28segmented_warp_reduce_kernelIdhLj31ELj100EENSt9enable_ifIXsr15benchmark_utilsE35device_test_enabled_for_warp_size_vIXT1_EEEvE4typeEPKT_PT0_PS3_
		.amdhsa_group_segment_fixed_size 248
		.amdhsa_private_segment_fixed_size 0
		.amdhsa_kernarg_size 280
		.amdhsa_user_sgpr_count 15
		.amdhsa_user_sgpr_dispatch_ptr 0
		.amdhsa_user_sgpr_queue_ptr 0
		.amdhsa_user_sgpr_kernarg_segment_ptr 1
		.amdhsa_user_sgpr_dispatch_id 0
		.amdhsa_user_sgpr_private_segment_size 0
		.amdhsa_wavefront_size32 1
		.amdhsa_uses_dynamic_stack 0
		.amdhsa_enable_private_segment 0
		.amdhsa_system_sgpr_workgroup_id_x 1
		.amdhsa_system_sgpr_workgroup_id_y 0
		.amdhsa_system_sgpr_workgroup_id_z 0
		.amdhsa_system_sgpr_workgroup_info 0
		.amdhsa_system_vgpr_workitem_id 0
		.amdhsa_next_free_vgpr 16
		.amdhsa_next_free_sgpr 16
		.amdhsa_reserve_vcc 1
		.amdhsa_float_round_mode_32 0
		.amdhsa_float_round_mode_16_64 0
		.amdhsa_float_denorm_mode_32 3
		.amdhsa_float_denorm_mode_16_64 3
		.amdhsa_dx10_clamp 1
		.amdhsa_ieee_mode 1
		.amdhsa_fp16_overflow 0
		.amdhsa_workgroup_processor_mode 1
		.amdhsa_memory_ordered 1
		.amdhsa_forward_progress 0
		.amdhsa_shared_vgpr_count 0
		.amdhsa_exception_fp_ieee_invalid_op 0
		.amdhsa_exception_fp_denorm_src 0
		.amdhsa_exception_fp_ieee_div_zero 0
		.amdhsa_exception_fp_ieee_overflow 0
		.amdhsa_exception_fp_ieee_underflow 0
		.amdhsa_exception_fp_ieee_inexact 0
		.amdhsa_exception_int_div_zero 0
	.end_amdhsa_kernel
	.section	.text._Z28segmented_warp_reduce_kernelIdhLj31ELj100EENSt9enable_ifIXsr15benchmark_utilsE35device_test_enabled_for_warp_size_vIXT1_EEEvE4typeEPKT_PT0_PS3_,"axG",@progbits,_Z28segmented_warp_reduce_kernelIdhLj31ELj100EENSt9enable_ifIXsr15benchmark_utilsE35device_test_enabled_for_warp_size_vIXT1_EEEvE4typeEPKT_PT0_PS3_,comdat
.Lfunc_end51:
	.size	_Z28segmented_warp_reduce_kernelIdhLj31ELj100EENSt9enable_ifIXsr15benchmark_utilsE35device_test_enabled_for_warp_size_vIXT1_EEEvE4typeEPKT_PT0_PS3_, .Lfunc_end51-_Z28segmented_warp_reduce_kernelIdhLj31ELj100EENSt9enable_ifIXsr15benchmark_utilsE35device_test_enabled_for_warp_size_vIXT1_EEEvE4typeEPKT_PT0_PS3_
                                        ; -- End function
	.section	.AMDGPU.csdata,"",@progbits
; Kernel info:
; codeLenInByte = 524
; NumSgprs: 18
; NumVgprs: 16
; ScratchSize: 0
; MemoryBound: 0
; FloatMode: 240
; IeeeMode: 1
; LDSByteSize: 248 bytes/workgroup (compile time only)
; SGPRBlocks: 2
; VGPRBlocks: 1
; NumSGPRsForWavesPerEU: 18
; NumVGPRsForWavesPerEU: 16
; Occupancy: 16
; WaveLimiterHint : 0
; COMPUTE_PGM_RSRC2:SCRATCH_EN: 0
; COMPUTE_PGM_RSRC2:USER_SGPR: 15
; COMPUTE_PGM_RSRC2:TRAP_HANDLER: 0
; COMPUTE_PGM_RSRC2:TGID_X_EN: 1
; COMPUTE_PGM_RSRC2:TGID_Y_EN: 0
; COMPUTE_PGM_RSRC2:TGID_Z_EN: 0
; COMPUTE_PGM_RSRC2:TIDIG_COMP_CNT: 0
	.section	.text._Z28segmented_warp_reduce_kernelIdhLj32ELj100EENSt9enable_ifIXsr15benchmark_utilsE35device_test_enabled_for_warp_size_vIXT1_EEEvE4typeEPKT_PT0_PS3_,"axG",@progbits,_Z28segmented_warp_reduce_kernelIdhLj32ELj100EENSt9enable_ifIXsr15benchmark_utilsE35device_test_enabled_for_warp_size_vIXT1_EEEvE4typeEPKT_PT0_PS3_,comdat
	.protected	_Z28segmented_warp_reduce_kernelIdhLj32ELj100EENSt9enable_ifIXsr15benchmark_utilsE35device_test_enabled_for_warp_size_vIXT1_EEEvE4typeEPKT_PT0_PS3_ ; -- Begin function _Z28segmented_warp_reduce_kernelIdhLj32ELj100EENSt9enable_ifIXsr15benchmark_utilsE35device_test_enabled_for_warp_size_vIXT1_EEEvE4typeEPKT_PT0_PS3_
	.globl	_Z28segmented_warp_reduce_kernelIdhLj32ELj100EENSt9enable_ifIXsr15benchmark_utilsE35device_test_enabled_for_warp_size_vIXT1_EEEvE4typeEPKT_PT0_PS3_
	.p2align	8
	.type	_Z28segmented_warp_reduce_kernelIdhLj32ELj100EENSt9enable_ifIXsr15benchmark_utilsE35device_test_enabled_for_warp_size_vIXT1_EEEvE4typeEPKT_PT0_PS3_,@function
_Z28segmented_warp_reduce_kernelIdhLj32ELj100EENSt9enable_ifIXsr15benchmark_utilsE35device_test_enabled_for_warp_size_vIXT1_EEEvE4typeEPKT_PT0_PS3_: ; @_Z28segmented_warp_reduce_kernelIdhLj32ELj100EENSt9enable_ifIXsr15benchmark_utilsE35device_test_enabled_for_warp_size_vIXT1_EEEvE4typeEPKT_PT0_PS3_
; %bb.0:
	s_clause 0x1
	s_load_b32 s2, s[0:1], 0x24
	s_load_b128 s[4:7], s[0:1], 0x0
	v_mbcnt_lo_u32_b32 v5, -1, 0
	s_load_b64 s[0:1], s[0:1], 0x10
	s_delay_alu instid0(VALU_DEP_1) | instskip(SKIP_4) | instid1(SALU_CYCLE_1)
	v_lshlrev_b32_e64 v6, v5, -1
	v_add_nc_u32_e32 v16, 16, v5
	v_add_nc_u32_e32 v8, 1, v5
	s_waitcnt lgkmcnt(0)
	s_and_b32 s2, s2, 0xffff
	v_mad_u64_u32 v[2:3], null, s15, s2, v[0:1]
	v_mov_b32_e32 v3, 0
	s_movk_i32 s2, 0x64
	s_delay_alu instid0(VALU_DEP_1)
	v_lshlrev_b64 v[0:1], 3, v[2:3]
	global_load_u8 v4, v2, s[6:7]
	v_add_co_u32 v2, vcc_lo, s4, v0
	v_add_co_ci_u32_e32 v3, vcc_lo, s5, v1, vcc_lo
	v_cmp_ne_u32_e32 vcc_lo, 31, v5
	global_load_b64 v[2:3], v[2:3], off
	v_add_co_ci_u32_e32 v7, vcc_lo, 0, v5, vcc_lo
	v_cmp_gt_u32_e32 vcc_lo, 30, v5
	s_delay_alu instid0(VALU_DEP_2) | instskip(SKIP_2) | instid1(VALU_DEP_2)
	v_lshlrev_b32_e32 v7, 2, v7
	v_cndmask_b32_e64 v9, 0, 1, vcc_lo
	v_cmp_gt_u32_e32 vcc_lo, 28, v5
	v_lshlrev_b32_e32 v9, 1, v9
	v_cndmask_b32_e64 v10, 0, 1, vcc_lo
	v_cmp_gt_u32_e32 vcc_lo, 24, v5
	s_delay_alu instid0(VALU_DEP_3) | instskip(NEXT) | instid1(VALU_DEP_3)
	v_add_lshl_u32 v9, v9, v5, 2
	v_lshlrev_b32_e32 v13, 2, v10
	v_cndmask_b32_e64 v11, 0, 1, vcc_lo
	v_cmp_gt_u32_e32 vcc_lo, 16, v5
	v_add_nc_u32_e32 v10, 2, v5
	s_delay_alu instid0(VALU_DEP_3) | instskip(SKIP_2) | instid1(VALU_DEP_3)
	v_lshlrev_b32_e32 v14, 3, v11
	v_cndmask_b32_e64 v12, 0, 1, vcc_lo
	v_add_lshl_u32 v11, v13, v5, 2
	v_add_lshl_u32 v13, v14, v5, 2
	s_delay_alu instid0(VALU_DEP_3) | instskip(SKIP_2) | instid1(VALU_DEP_3)
	v_lshlrev_b32_e32 v15, 4, v12
	v_add_nc_u32_e32 v12, 4, v5
	v_add_nc_u32_e32 v14, 8, v5
	v_add_lshl_u32 v15, v15, v5, 2
	s_waitcnt vmcnt(1)
	v_cmp_ne_u16_e32 vcc_lo, 0, v4
	v_cndmask_b32_e64 v17, 0, 1, vcc_lo
	s_branch .LBB52_2
.LBB52_1:                               ;   in Loop: Header=BB52_2 Depth=1
	s_or_b32 exec_lo, exec_lo, s3
	s_add_i32 s2, s2, -1
	s_delay_alu instid0(SALU_CYCLE_1)
	s_cmp_eq_u32 s2, 0
	s_cbranch_scc1 .LBB52_12
.LBB52_2:                               ; =>This Inner Loop Header: Depth=1
	s_waitcnt vmcnt(0) lgkmcnt(1)
	ds_bpermute_b32 v4, v7, v2
	s_waitcnt lgkmcnt(1)
	ds_bpermute_b32 v5, v7, v3
	v_cmp_ne_u32_e32 vcc_lo, 0, v17
	s_lshr_b32 s3, vcc_lo, 1
	s_delay_alu instid0(SALU_CYCLE_1) | instskip(SKIP_1) | instid1(VALU_DEP_1)
	v_and_or_b32 v18, v6, s3, 0x80000000
	s_mov_b32 s3, exec_lo
	v_ctz_i32_b32_e32 v18, v18
	s_delay_alu instid0(VALU_DEP_1)
	v_cmpx_le_u32_e64 v8, v18
	s_cbranch_execz .LBB52_4
; %bb.3:                                ;   in Loop: Header=BB52_2 Depth=1
	s_waitcnt lgkmcnt(0)
	v_add_f64 v[2:3], v[2:3], v[4:5]
.LBB52_4:                               ;   in Loop: Header=BB52_2 Depth=1
	s_or_b32 exec_lo, exec_lo, s3
	s_waitcnt lgkmcnt(1)
	ds_bpermute_b32 v4, v9, v2
	s_waitcnt lgkmcnt(1)
	ds_bpermute_b32 v5, v9, v3
	s_mov_b32 s3, exec_lo
	v_cmpx_le_u32_e64 v10, v18
	s_cbranch_execz .LBB52_6
; %bb.5:                                ;   in Loop: Header=BB52_2 Depth=1
	s_waitcnt lgkmcnt(0)
	v_add_f64 v[2:3], v[2:3], v[4:5]
.LBB52_6:                               ;   in Loop: Header=BB52_2 Depth=1
	s_or_b32 exec_lo, exec_lo, s3
	s_waitcnt lgkmcnt(1)
	ds_bpermute_b32 v4, v11, v2
	s_waitcnt lgkmcnt(1)
	ds_bpermute_b32 v5, v11, v3
	s_mov_b32 s3, exec_lo
	;; [unrolled: 12-line block ×3, first 2 shown]
	v_cmpx_le_u32_e64 v14, v18
	s_cbranch_execz .LBB52_10
; %bb.9:                                ;   in Loop: Header=BB52_2 Depth=1
	s_waitcnt lgkmcnt(0)
	v_add_f64 v[2:3], v[2:3], v[4:5]
.LBB52_10:                              ;   in Loop: Header=BB52_2 Depth=1
	s_or_b32 exec_lo, exec_lo, s3
	s_waitcnt lgkmcnt(1)
	ds_bpermute_b32 v4, v15, v2
	s_waitcnt lgkmcnt(1)
	ds_bpermute_b32 v5, v15, v3
	s_mov_b32 s3, exec_lo
	v_cmpx_le_u32_e64 v16, v18
	s_cbranch_execz .LBB52_1
; %bb.11:                               ;   in Loop: Header=BB52_2 Depth=1
	s_waitcnt lgkmcnt(0)
	v_add_f64 v[2:3], v[2:3], v[4:5]
	s_branch .LBB52_1
.LBB52_12:
	v_add_co_u32 v0, vcc_lo, s0, v0
	v_add_co_ci_u32_e32 v1, vcc_lo, s1, v1, vcc_lo
	global_store_b64 v[0:1], v[2:3], off
	s_nop 0
	s_sendmsg sendmsg(MSG_DEALLOC_VGPRS)
	s_endpgm
	.section	.rodata,"a",@progbits
	.p2align	6, 0x0
	.amdhsa_kernel _Z28segmented_warp_reduce_kernelIdhLj32ELj100EENSt9enable_ifIXsr15benchmark_utilsE35device_test_enabled_for_warp_size_vIXT1_EEEvE4typeEPKT_PT0_PS3_
		.amdhsa_group_segment_fixed_size 0
		.amdhsa_private_segment_fixed_size 0
		.amdhsa_kernarg_size 280
		.amdhsa_user_sgpr_count 15
		.amdhsa_user_sgpr_dispatch_ptr 0
		.amdhsa_user_sgpr_queue_ptr 0
		.amdhsa_user_sgpr_kernarg_segment_ptr 1
		.amdhsa_user_sgpr_dispatch_id 0
		.amdhsa_user_sgpr_private_segment_size 0
		.amdhsa_wavefront_size32 1
		.amdhsa_uses_dynamic_stack 0
		.amdhsa_enable_private_segment 0
		.amdhsa_system_sgpr_workgroup_id_x 1
		.amdhsa_system_sgpr_workgroup_id_y 0
		.amdhsa_system_sgpr_workgroup_id_z 0
		.amdhsa_system_sgpr_workgroup_info 0
		.amdhsa_system_vgpr_workitem_id 0
		.amdhsa_next_free_vgpr 19
		.amdhsa_next_free_sgpr 16
		.amdhsa_reserve_vcc 1
		.amdhsa_float_round_mode_32 0
		.amdhsa_float_round_mode_16_64 0
		.amdhsa_float_denorm_mode_32 3
		.amdhsa_float_denorm_mode_16_64 3
		.amdhsa_dx10_clamp 1
		.amdhsa_ieee_mode 1
		.amdhsa_fp16_overflow 0
		.amdhsa_workgroup_processor_mode 1
		.amdhsa_memory_ordered 1
		.amdhsa_forward_progress 0
		.amdhsa_shared_vgpr_count 0
		.amdhsa_exception_fp_ieee_invalid_op 0
		.amdhsa_exception_fp_denorm_src 0
		.amdhsa_exception_fp_ieee_div_zero 0
		.amdhsa_exception_fp_ieee_overflow 0
		.amdhsa_exception_fp_ieee_underflow 0
		.amdhsa_exception_fp_ieee_inexact 0
		.amdhsa_exception_int_div_zero 0
	.end_amdhsa_kernel
	.section	.text._Z28segmented_warp_reduce_kernelIdhLj32ELj100EENSt9enable_ifIXsr15benchmark_utilsE35device_test_enabled_for_warp_size_vIXT1_EEEvE4typeEPKT_PT0_PS3_,"axG",@progbits,_Z28segmented_warp_reduce_kernelIdhLj32ELj100EENSt9enable_ifIXsr15benchmark_utilsE35device_test_enabled_for_warp_size_vIXT1_EEEvE4typeEPKT_PT0_PS3_,comdat
.Lfunc_end52:
	.size	_Z28segmented_warp_reduce_kernelIdhLj32ELj100EENSt9enable_ifIXsr15benchmark_utilsE35device_test_enabled_for_warp_size_vIXT1_EEEvE4typeEPKT_PT0_PS3_, .Lfunc_end52-_Z28segmented_warp_reduce_kernelIdhLj32ELj100EENSt9enable_ifIXsr15benchmark_utilsE35device_test_enabled_for_warp_size_vIXT1_EEEvE4typeEPKT_PT0_PS3_
                                        ; -- End function
	.section	.AMDGPU.csdata,"",@progbits
; Kernel info:
; codeLenInByte = 644
; NumSgprs: 18
; NumVgprs: 19
; ScratchSize: 0
; MemoryBound: 0
; FloatMode: 240
; IeeeMode: 1
; LDSByteSize: 0 bytes/workgroup (compile time only)
; SGPRBlocks: 2
; VGPRBlocks: 2
; NumSGPRsForWavesPerEU: 18
; NumVGPRsForWavesPerEU: 19
; Occupancy: 16
; WaveLimiterHint : 0
; COMPUTE_PGM_RSRC2:SCRATCH_EN: 0
; COMPUTE_PGM_RSRC2:USER_SGPR: 15
; COMPUTE_PGM_RSRC2:TRAP_HANDLER: 0
; COMPUTE_PGM_RSRC2:TGID_X_EN: 1
; COMPUTE_PGM_RSRC2:TGID_Y_EN: 0
; COMPUTE_PGM_RSRC2:TGID_Z_EN: 0
; COMPUTE_PGM_RSRC2:TIDIG_COMP_CNT: 0
	.section	.text._Z28segmented_warp_reduce_kernelIdhLj37ELj100EENSt9enable_ifIXntsr15benchmark_utilsE35device_test_enabled_for_warp_size_vIXT1_EEEvE4typeEPKT_PT0_PS3_,"axG",@progbits,_Z28segmented_warp_reduce_kernelIdhLj37ELj100EENSt9enable_ifIXntsr15benchmark_utilsE35device_test_enabled_for_warp_size_vIXT1_EEEvE4typeEPKT_PT0_PS3_,comdat
	.protected	_Z28segmented_warp_reduce_kernelIdhLj37ELj100EENSt9enable_ifIXntsr15benchmark_utilsE35device_test_enabled_for_warp_size_vIXT1_EEEvE4typeEPKT_PT0_PS3_ ; -- Begin function _Z28segmented_warp_reduce_kernelIdhLj37ELj100EENSt9enable_ifIXntsr15benchmark_utilsE35device_test_enabled_for_warp_size_vIXT1_EEEvE4typeEPKT_PT0_PS3_
	.globl	_Z28segmented_warp_reduce_kernelIdhLj37ELj100EENSt9enable_ifIXntsr15benchmark_utilsE35device_test_enabled_for_warp_size_vIXT1_EEEvE4typeEPKT_PT0_PS3_
	.p2align	8
	.type	_Z28segmented_warp_reduce_kernelIdhLj37ELj100EENSt9enable_ifIXntsr15benchmark_utilsE35device_test_enabled_for_warp_size_vIXT1_EEEvE4typeEPKT_PT0_PS3_,@function
_Z28segmented_warp_reduce_kernelIdhLj37ELj100EENSt9enable_ifIXntsr15benchmark_utilsE35device_test_enabled_for_warp_size_vIXT1_EEEvE4typeEPKT_PT0_PS3_: ; @_Z28segmented_warp_reduce_kernelIdhLj37ELj100EENSt9enable_ifIXntsr15benchmark_utilsE35device_test_enabled_for_warp_size_vIXT1_EEEvE4typeEPKT_PT0_PS3_
; %bb.0:
	s_endpgm
	.section	.rodata,"a",@progbits
	.p2align	6, 0x0
	.amdhsa_kernel _Z28segmented_warp_reduce_kernelIdhLj37ELj100EENSt9enable_ifIXntsr15benchmark_utilsE35device_test_enabled_for_warp_size_vIXT1_EEEvE4typeEPKT_PT0_PS3_
		.amdhsa_group_segment_fixed_size 0
		.amdhsa_private_segment_fixed_size 0
		.amdhsa_kernarg_size 24
		.amdhsa_user_sgpr_count 15
		.amdhsa_user_sgpr_dispatch_ptr 0
		.amdhsa_user_sgpr_queue_ptr 0
		.amdhsa_user_sgpr_kernarg_segment_ptr 1
		.amdhsa_user_sgpr_dispatch_id 0
		.amdhsa_user_sgpr_private_segment_size 0
		.amdhsa_wavefront_size32 1
		.amdhsa_uses_dynamic_stack 0
		.amdhsa_enable_private_segment 0
		.amdhsa_system_sgpr_workgroup_id_x 1
		.amdhsa_system_sgpr_workgroup_id_y 0
		.amdhsa_system_sgpr_workgroup_id_z 0
		.amdhsa_system_sgpr_workgroup_info 0
		.amdhsa_system_vgpr_workitem_id 0
		.amdhsa_next_free_vgpr 1
		.amdhsa_next_free_sgpr 1
		.amdhsa_reserve_vcc 0
		.amdhsa_float_round_mode_32 0
		.amdhsa_float_round_mode_16_64 0
		.amdhsa_float_denorm_mode_32 3
		.amdhsa_float_denorm_mode_16_64 3
		.amdhsa_dx10_clamp 1
		.amdhsa_ieee_mode 1
		.amdhsa_fp16_overflow 0
		.amdhsa_workgroup_processor_mode 1
		.amdhsa_memory_ordered 1
		.amdhsa_forward_progress 0
		.amdhsa_shared_vgpr_count 0
		.amdhsa_exception_fp_ieee_invalid_op 0
		.amdhsa_exception_fp_denorm_src 0
		.amdhsa_exception_fp_ieee_div_zero 0
		.amdhsa_exception_fp_ieee_overflow 0
		.amdhsa_exception_fp_ieee_underflow 0
		.amdhsa_exception_fp_ieee_inexact 0
		.amdhsa_exception_int_div_zero 0
	.end_amdhsa_kernel
	.section	.text._Z28segmented_warp_reduce_kernelIdhLj37ELj100EENSt9enable_ifIXntsr15benchmark_utilsE35device_test_enabled_for_warp_size_vIXT1_EEEvE4typeEPKT_PT0_PS3_,"axG",@progbits,_Z28segmented_warp_reduce_kernelIdhLj37ELj100EENSt9enable_ifIXntsr15benchmark_utilsE35device_test_enabled_for_warp_size_vIXT1_EEEvE4typeEPKT_PT0_PS3_,comdat
.Lfunc_end53:
	.size	_Z28segmented_warp_reduce_kernelIdhLj37ELj100EENSt9enable_ifIXntsr15benchmark_utilsE35device_test_enabled_for_warp_size_vIXT1_EEEvE4typeEPKT_PT0_PS3_, .Lfunc_end53-_Z28segmented_warp_reduce_kernelIdhLj37ELj100EENSt9enable_ifIXntsr15benchmark_utilsE35device_test_enabled_for_warp_size_vIXT1_EEEvE4typeEPKT_PT0_PS3_
                                        ; -- End function
	.section	.AMDGPU.csdata,"",@progbits
; Kernel info:
; codeLenInByte = 4
; NumSgprs: 0
; NumVgprs: 0
; ScratchSize: 0
; MemoryBound: 0
; FloatMode: 240
; IeeeMode: 1
; LDSByteSize: 0 bytes/workgroup (compile time only)
; SGPRBlocks: 0
; VGPRBlocks: 0
; NumSGPRsForWavesPerEU: 1
; NumVGPRsForWavesPerEU: 1
; Occupancy: 16
; WaveLimiterHint : 0
; COMPUTE_PGM_RSRC2:SCRATCH_EN: 0
; COMPUTE_PGM_RSRC2:USER_SGPR: 15
; COMPUTE_PGM_RSRC2:TRAP_HANDLER: 0
; COMPUTE_PGM_RSRC2:TGID_X_EN: 1
; COMPUTE_PGM_RSRC2:TGID_Y_EN: 0
; COMPUTE_PGM_RSRC2:TGID_Z_EN: 0
; COMPUTE_PGM_RSRC2:TIDIG_COMP_CNT: 0
	.section	.text._Z28segmented_warp_reduce_kernelIdhLj61ELj100EENSt9enable_ifIXntsr15benchmark_utilsE35device_test_enabled_for_warp_size_vIXT1_EEEvE4typeEPKT_PT0_PS3_,"axG",@progbits,_Z28segmented_warp_reduce_kernelIdhLj61ELj100EENSt9enable_ifIXntsr15benchmark_utilsE35device_test_enabled_for_warp_size_vIXT1_EEEvE4typeEPKT_PT0_PS3_,comdat
	.protected	_Z28segmented_warp_reduce_kernelIdhLj61ELj100EENSt9enable_ifIXntsr15benchmark_utilsE35device_test_enabled_for_warp_size_vIXT1_EEEvE4typeEPKT_PT0_PS3_ ; -- Begin function _Z28segmented_warp_reduce_kernelIdhLj61ELj100EENSt9enable_ifIXntsr15benchmark_utilsE35device_test_enabled_for_warp_size_vIXT1_EEEvE4typeEPKT_PT0_PS3_
	.globl	_Z28segmented_warp_reduce_kernelIdhLj61ELj100EENSt9enable_ifIXntsr15benchmark_utilsE35device_test_enabled_for_warp_size_vIXT1_EEEvE4typeEPKT_PT0_PS3_
	.p2align	8
	.type	_Z28segmented_warp_reduce_kernelIdhLj61ELj100EENSt9enable_ifIXntsr15benchmark_utilsE35device_test_enabled_for_warp_size_vIXT1_EEEvE4typeEPKT_PT0_PS3_,@function
_Z28segmented_warp_reduce_kernelIdhLj61ELj100EENSt9enable_ifIXntsr15benchmark_utilsE35device_test_enabled_for_warp_size_vIXT1_EEEvE4typeEPKT_PT0_PS3_: ; @_Z28segmented_warp_reduce_kernelIdhLj61ELj100EENSt9enable_ifIXntsr15benchmark_utilsE35device_test_enabled_for_warp_size_vIXT1_EEEvE4typeEPKT_PT0_PS3_
; %bb.0:
	s_endpgm
	.section	.rodata,"a",@progbits
	.p2align	6, 0x0
	.amdhsa_kernel _Z28segmented_warp_reduce_kernelIdhLj61ELj100EENSt9enable_ifIXntsr15benchmark_utilsE35device_test_enabled_for_warp_size_vIXT1_EEEvE4typeEPKT_PT0_PS3_
		.amdhsa_group_segment_fixed_size 0
		.amdhsa_private_segment_fixed_size 0
		.amdhsa_kernarg_size 24
		.amdhsa_user_sgpr_count 15
		.amdhsa_user_sgpr_dispatch_ptr 0
		.amdhsa_user_sgpr_queue_ptr 0
		.amdhsa_user_sgpr_kernarg_segment_ptr 1
		.amdhsa_user_sgpr_dispatch_id 0
		.amdhsa_user_sgpr_private_segment_size 0
		.amdhsa_wavefront_size32 1
		.amdhsa_uses_dynamic_stack 0
		.amdhsa_enable_private_segment 0
		.amdhsa_system_sgpr_workgroup_id_x 1
		.amdhsa_system_sgpr_workgroup_id_y 0
		.amdhsa_system_sgpr_workgroup_id_z 0
		.amdhsa_system_sgpr_workgroup_info 0
		.amdhsa_system_vgpr_workitem_id 0
		.amdhsa_next_free_vgpr 1
		.amdhsa_next_free_sgpr 1
		.amdhsa_reserve_vcc 0
		.amdhsa_float_round_mode_32 0
		.amdhsa_float_round_mode_16_64 0
		.amdhsa_float_denorm_mode_32 3
		.amdhsa_float_denorm_mode_16_64 3
		.amdhsa_dx10_clamp 1
		.amdhsa_ieee_mode 1
		.amdhsa_fp16_overflow 0
		.amdhsa_workgroup_processor_mode 1
		.amdhsa_memory_ordered 1
		.amdhsa_forward_progress 0
		.amdhsa_shared_vgpr_count 0
		.amdhsa_exception_fp_ieee_invalid_op 0
		.amdhsa_exception_fp_denorm_src 0
		.amdhsa_exception_fp_ieee_div_zero 0
		.amdhsa_exception_fp_ieee_overflow 0
		.amdhsa_exception_fp_ieee_underflow 0
		.amdhsa_exception_fp_ieee_inexact 0
		.amdhsa_exception_int_div_zero 0
	.end_amdhsa_kernel
	.section	.text._Z28segmented_warp_reduce_kernelIdhLj61ELj100EENSt9enable_ifIXntsr15benchmark_utilsE35device_test_enabled_for_warp_size_vIXT1_EEEvE4typeEPKT_PT0_PS3_,"axG",@progbits,_Z28segmented_warp_reduce_kernelIdhLj61ELj100EENSt9enable_ifIXntsr15benchmark_utilsE35device_test_enabled_for_warp_size_vIXT1_EEEvE4typeEPKT_PT0_PS3_,comdat
.Lfunc_end54:
	.size	_Z28segmented_warp_reduce_kernelIdhLj61ELj100EENSt9enable_ifIXntsr15benchmark_utilsE35device_test_enabled_for_warp_size_vIXT1_EEEvE4typeEPKT_PT0_PS3_, .Lfunc_end54-_Z28segmented_warp_reduce_kernelIdhLj61ELj100EENSt9enable_ifIXntsr15benchmark_utilsE35device_test_enabled_for_warp_size_vIXT1_EEEvE4typeEPKT_PT0_PS3_
                                        ; -- End function
	.section	.AMDGPU.csdata,"",@progbits
; Kernel info:
; codeLenInByte = 4
; NumSgprs: 0
; NumVgprs: 0
; ScratchSize: 0
; MemoryBound: 0
; FloatMode: 240
; IeeeMode: 1
; LDSByteSize: 0 bytes/workgroup (compile time only)
; SGPRBlocks: 0
; VGPRBlocks: 0
; NumSGPRsForWavesPerEU: 1
; NumVGPRsForWavesPerEU: 1
; Occupancy: 16
; WaveLimiterHint : 0
; COMPUTE_PGM_RSRC2:SCRATCH_EN: 0
; COMPUTE_PGM_RSRC2:USER_SGPR: 15
; COMPUTE_PGM_RSRC2:TRAP_HANDLER: 0
; COMPUTE_PGM_RSRC2:TGID_X_EN: 1
; COMPUTE_PGM_RSRC2:TGID_Y_EN: 0
; COMPUTE_PGM_RSRC2:TGID_Z_EN: 0
; COMPUTE_PGM_RSRC2:TIDIG_COMP_CNT: 0
	.section	.text._Z28segmented_warp_reduce_kernelIdhLj64ELj100EENSt9enable_ifIXntsr15benchmark_utilsE35device_test_enabled_for_warp_size_vIXT1_EEEvE4typeEPKT_PT0_PS3_,"axG",@progbits,_Z28segmented_warp_reduce_kernelIdhLj64ELj100EENSt9enable_ifIXntsr15benchmark_utilsE35device_test_enabled_for_warp_size_vIXT1_EEEvE4typeEPKT_PT0_PS3_,comdat
	.protected	_Z28segmented_warp_reduce_kernelIdhLj64ELj100EENSt9enable_ifIXntsr15benchmark_utilsE35device_test_enabled_for_warp_size_vIXT1_EEEvE4typeEPKT_PT0_PS3_ ; -- Begin function _Z28segmented_warp_reduce_kernelIdhLj64ELj100EENSt9enable_ifIXntsr15benchmark_utilsE35device_test_enabled_for_warp_size_vIXT1_EEEvE4typeEPKT_PT0_PS3_
	.globl	_Z28segmented_warp_reduce_kernelIdhLj64ELj100EENSt9enable_ifIXntsr15benchmark_utilsE35device_test_enabled_for_warp_size_vIXT1_EEEvE4typeEPKT_PT0_PS3_
	.p2align	8
	.type	_Z28segmented_warp_reduce_kernelIdhLj64ELj100EENSt9enable_ifIXntsr15benchmark_utilsE35device_test_enabled_for_warp_size_vIXT1_EEEvE4typeEPKT_PT0_PS3_,@function
_Z28segmented_warp_reduce_kernelIdhLj64ELj100EENSt9enable_ifIXntsr15benchmark_utilsE35device_test_enabled_for_warp_size_vIXT1_EEEvE4typeEPKT_PT0_PS3_: ; @_Z28segmented_warp_reduce_kernelIdhLj64ELj100EENSt9enable_ifIXntsr15benchmark_utilsE35device_test_enabled_for_warp_size_vIXT1_EEEvE4typeEPKT_PT0_PS3_
; %bb.0:
	s_endpgm
	.section	.rodata,"a",@progbits
	.p2align	6, 0x0
	.amdhsa_kernel _Z28segmented_warp_reduce_kernelIdhLj64ELj100EENSt9enable_ifIXntsr15benchmark_utilsE35device_test_enabled_for_warp_size_vIXT1_EEEvE4typeEPKT_PT0_PS3_
		.amdhsa_group_segment_fixed_size 0
		.amdhsa_private_segment_fixed_size 0
		.amdhsa_kernarg_size 24
		.amdhsa_user_sgpr_count 15
		.amdhsa_user_sgpr_dispatch_ptr 0
		.amdhsa_user_sgpr_queue_ptr 0
		.amdhsa_user_sgpr_kernarg_segment_ptr 1
		.amdhsa_user_sgpr_dispatch_id 0
		.amdhsa_user_sgpr_private_segment_size 0
		.amdhsa_wavefront_size32 1
		.amdhsa_uses_dynamic_stack 0
		.amdhsa_enable_private_segment 0
		.amdhsa_system_sgpr_workgroup_id_x 1
		.amdhsa_system_sgpr_workgroup_id_y 0
		.amdhsa_system_sgpr_workgroup_id_z 0
		.amdhsa_system_sgpr_workgroup_info 0
		.amdhsa_system_vgpr_workitem_id 0
		.amdhsa_next_free_vgpr 1
		.amdhsa_next_free_sgpr 1
		.amdhsa_reserve_vcc 0
		.amdhsa_float_round_mode_32 0
		.amdhsa_float_round_mode_16_64 0
		.amdhsa_float_denorm_mode_32 3
		.amdhsa_float_denorm_mode_16_64 3
		.amdhsa_dx10_clamp 1
		.amdhsa_ieee_mode 1
		.amdhsa_fp16_overflow 0
		.amdhsa_workgroup_processor_mode 1
		.amdhsa_memory_ordered 1
		.amdhsa_forward_progress 0
		.amdhsa_shared_vgpr_count 0
		.amdhsa_exception_fp_ieee_invalid_op 0
		.amdhsa_exception_fp_denorm_src 0
		.amdhsa_exception_fp_ieee_div_zero 0
		.amdhsa_exception_fp_ieee_overflow 0
		.amdhsa_exception_fp_ieee_underflow 0
		.amdhsa_exception_fp_ieee_inexact 0
		.amdhsa_exception_int_div_zero 0
	.end_amdhsa_kernel
	.section	.text._Z28segmented_warp_reduce_kernelIdhLj64ELj100EENSt9enable_ifIXntsr15benchmark_utilsE35device_test_enabled_for_warp_size_vIXT1_EEEvE4typeEPKT_PT0_PS3_,"axG",@progbits,_Z28segmented_warp_reduce_kernelIdhLj64ELj100EENSt9enable_ifIXntsr15benchmark_utilsE35device_test_enabled_for_warp_size_vIXT1_EEEvE4typeEPKT_PT0_PS3_,comdat
.Lfunc_end55:
	.size	_Z28segmented_warp_reduce_kernelIdhLj64ELj100EENSt9enable_ifIXntsr15benchmark_utilsE35device_test_enabled_for_warp_size_vIXT1_EEEvE4typeEPKT_PT0_PS3_, .Lfunc_end55-_Z28segmented_warp_reduce_kernelIdhLj64ELj100EENSt9enable_ifIXntsr15benchmark_utilsE35device_test_enabled_for_warp_size_vIXT1_EEEvE4typeEPKT_PT0_PS3_
                                        ; -- End function
	.section	.AMDGPU.csdata,"",@progbits
; Kernel info:
; codeLenInByte = 4
; NumSgprs: 0
; NumVgprs: 0
; ScratchSize: 0
; MemoryBound: 0
; FloatMode: 240
; IeeeMode: 1
; LDSByteSize: 0 bytes/workgroup (compile time only)
; SGPRBlocks: 0
; VGPRBlocks: 0
; NumSGPRsForWavesPerEU: 1
; NumVGPRsForWavesPerEU: 1
; Occupancy: 16
; WaveLimiterHint : 0
; COMPUTE_PGM_RSRC2:SCRATCH_EN: 0
; COMPUTE_PGM_RSRC2:USER_SGPR: 15
; COMPUTE_PGM_RSRC2:TRAP_HANDLER: 0
; COMPUTE_PGM_RSRC2:TGID_X_EN: 1
; COMPUTE_PGM_RSRC2:TGID_Y_EN: 0
; COMPUTE_PGM_RSRC2:TGID_Z_EN: 0
; COMPUTE_PGM_RSRC2:TIDIG_COMP_CNT: 0
	.section	.text._Z28segmented_warp_reduce_kernelIahLj15ELj100EENSt9enable_ifIXsr15benchmark_utilsE35device_test_enabled_for_warp_size_vIXT1_EEEvE4typeEPKT_PT0_PS3_,"axG",@progbits,_Z28segmented_warp_reduce_kernelIahLj15ELj100EENSt9enable_ifIXsr15benchmark_utilsE35device_test_enabled_for_warp_size_vIXT1_EEEvE4typeEPKT_PT0_PS3_,comdat
	.protected	_Z28segmented_warp_reduce_kernelIahLj15ELj100EENSt9enable_ifIXsr15benchmark_utilsE35device_test_enabled_for_warp_size_vIXT1_EEEvE4typeEPKT_PT0_PS3_ ; -- Begin function _Z28segmented_warp_reduce_kernelIahLj15ELj100EENSt9enable_ifIXsr15benchmark_utilsE35device_test_enabled_for_warp_size_vIXT1_EEEvE4typeEPKT_PT0_PS3_
	.globl	_Z28segmented_warp_reduce_kernelIahLj15ELj100EENSt9enable_ifIXsr15benchmark_utilsE35device_test_enabled_for_warp_size_vIXT1_EEEvE4typeEPKT_PT0_PS3_
	.p2align	8
	.type	_Z28segmented_warp_reduce_kernelIahLj15ELj100EENSt9enable_ifIXsr15benchmark_utilsE35device_test_enabled_for_warp_size_vIXT1_EEEvE4typeEPKT_PT0_PS3_,@function
_Z28segmented_warp_reduce_kernelIahLj15ELj100EENSt9enable_ifIXsr15benchmark_utilsE35device_test_enabled_for_warp_size_vIXT1_EEEvE4typeEPKT_PT0_PS3_: ; @_Z28segmented_warp_reduce_kernelIahLj15ELj100EENSt9enable_ifIXsr15benchmark_utilsE35device_test_enabled_for_warp_size_vIXT1_EEEvE4typeEPKT_PT0_PS3_
; %bb.0:
	s_clause 0x1
	s_load_b32 s2, s[0:1], 0x24
	s_load_b128 s[4:7], s[0:1], 0x0
	v_mbcnt_lo_u32_b32 v4, -1, 0
	s_load_b64 s[0:1], s[0:1], 0x10
	s_waitcnt lgkmcnt(0)
	s_and_b32 s2, s2, 0xffff
	s_delay_alu instid0(SALU_CYCLE_1)
	v_mad_u64_u32 v[1:2], null, s15, s2, v[0:1]
	v_mul_hi_u32 v2, 0x11111112, v4
	s_movk_i32 s2, 0x64
	s_clause 0x1
	global_load_u8 v8, v1, s[6:7]
	global_load_u8 v0, v1, s[4:5]
	v_mul_u32_u24_e32 v2, 15, v2
	s_delay_alu instid0(VALU_DEP_1) | instskip(SKIP_1) | instid1(VALU_DEP_2)
	v_sub_nc_u32_e32 v3, v4, v2
	v_lshlrev_b32_e64 v4, v4, -1
	v_add_nc_u32_e32 v5, 2, v3
	v_add_nc_u32_e32 v6, 4, v3
	v_add_nc_u32_e32 v7, 8, v3
	s_waitcnt vmcnt(1)
	v_cmp_ne_u16_e32 vcc_lo, 0, v8
	v_cndmask_b32_e64 v8, 0, 1, vcc_lo
	s_branch .LBB56_2
.LBB56_1:                               ;   in Loop: Header=BB56_2 Depth=1
	s_or_b32 exec_lo, exec_lo, s3
	s_add_i32 s2, s2, -1
	s_delay_alu instid0(SALU_CYCLE_1)
	s_cmp_eq_u32 s2, 0
	; wave barrier
	s_cbranch_scc1 .LBB56_10
.LBB56_2:                               ; =>This Inner Loop Header: Depth=1
	s_delay_alu instid0(VALU_DEP_1) | instskip(SKIP_3) | instid1(SALU_CYCLE_1)
	v_cmp_ne_u32_e32 vcc_lo, 0, v8
	s_waitcnt vmcnt(0)
	ds_store_b8 v3, v0
	; wave barrier
	s_lshr_b32 s3, vcc_lo, 1
	v_and_b32_e32 v9, s3, v4
	s_mov_b32 s3, exec_lo
	s_delay_alu instid0(VALU_DEP_1) | instskip(NEXT) | instid1(VALU_DEP_1)
	v_lshrrev_b32_e32 v9, v2, v9
	v_or_b32_e32 v9, 0x4000, v9
	s_delay_alu instid0(VALU_DEP_1) | instskip(NEXT) | instid1(VALU_DEP_1)
	v_ctz_i32_b32_e32 v9, v9
	v_cmpx_lt_u32_e64 v3, v9
	s_cbranch_execz .LBB56_4
; %bb.3:                                ;   in Loop: Header=BB56_2 Depth=1
	ds_load_u8 v10, v3 offset:1
	s_waitcnt lgkmcnt(0)
	v_add_nc_u16 v0, v10, v0
.LBB56_4:                               ;   in Loop: Header=BB56_2 Depth=1
	s_or_b32 exec_lo, exec_lo, s3
	s_delay_alu instid0(SALU_CYCLE_1)
	s_mov_b32 s3, exec_lo
	; wave barrier
	ds_store_b8 v3, v0
	; wave barrier
	v_cmpx_le_u32_e64 v5, v9
	s_cbranch_execz .LBB56_6
; %bb.5:                                ;   in Loop: Header=BB56_2 Depth=1
	ds_load_u8 v10, v3 offset:2
	s_waitcnt lgkmcnt(0)
	v_add_nc_u16 v0, v10, v0
.LBB56_6:                               ;   in Loop: Header=BB56_2 Depth=1
	s_or_b32 exec_lo, exec_lo, s3
	s_delay_alu instid0(SALU_CYCLE_1)
	s_mov_b32 s3, exec_lo
	; wave barrier
	ds_store_b8 v3, v0
	; wave barrier
	v_cmpx_le_u32_e64 v6, v9
	;; [unrolled: 13-line block ×3, first 2 shown]
	s_cbranch_execz .LBB56_1
; %bb.9:                                ;   in Loop: Header=BB56_2 Depth=1
	ds_load_u8 v9, v3 offset:8
	s_waitcnt lgkmcnt(0)
	v_add_nc_u16 v0, v9, v0
	s_branch .LBB56_1
.LBB56_10:
	v_add_co_u32 v1, s0, s0, v1
	s_delay_alu instid0(VALU_DEP_1)
	v_add_co_ci_u32_e64 v2, null, s1, 0, s0
	global_store_b8 v[1:2], v0, off
	s_nop 0
	s_sendmsg sendmsg(MSG_DEALLOC_VGPRS)
	s_endpgm
	.section	.rodata,"a",@progbits
	.p2align	6, 0x0
	.amdhsa_kernel _Z28segmented_warp_reduce_kernelIahLj15ELj100EENSt9enable_ifIXsr15benchmark_utilsE35device_test_enabled_for_warp_size_vIXT1_EEEvE4typeEPKT_PT0_PS3_
		.amdhsa_group_segment_fixed_size 15
		.amdhsa_private_segment_fixed_size 0
		.amdhsa_kernarg_size 280
		.amdhsa_user_sgpr_count 15
		.amdhsa_user_sgpr_dispatch_ptr 0
		.amdhsa_user_sgpr_queue_ptr 0
		.amdhsa_user_sgpr_kernarg_segment_ptr 1
		.amdhsa_user_sgpr_dispatch_id 0
		.amdhsa_user_sgpr_private_segment_size 0
		.amdhsa_wavefront_size32 1
		.amdhsa_uses_dynamic_stack 0
		.amdhsa_enable_private_segment 0
		.amdhsa_system_sgpr_workgroup_id_x 1
		.amdhsa_system_sgpr_workgroup_id_y 0
		.amdhsa_system_sgpr_workgroup_id_z 0
		.amdhsa_system_sgpr_workgroup_info 0
		.amdhsa_system_vgpr_workitem_id 0
		.amdhsa_next_free_vgpr 11
		.amdhsa_next_free_sgpr 16
		.amdhsa_reserve_vcc 1
		.amdhsa_float_round_mode_32 0
		.amdhsa_float_round_mode_16_64 0
		.amdhsa_float_denorm_mode_32 3
		.amdhsa_float_denorm_mode_16_64 3
		.amdhsa_dx10_clamp 1
		.amdhsa_ieee_mode 1
		.amdhsa_fp16_overflow 0
		.amdhsa_workgroup_processor_mode 1
		.amdhsa_memory_ordered 1
		.amdhsa_forward_progress 0
		.amdhsa_shared_vgpr_count 0
		.amdhsa_exception_fp_ieee_invalid_op 0
		.amdhsa_exception_fp_denorm_src 0
		.amdhsa_exception_fp_ieee_div_zero 0
		.amdhsa_exception_fp_ieee_overflow 0
		.amdhsa_exception_fp_ieee_underflow 0
		.amdhsa_exception_fp_ieee_inexact 0
		.amdhsa_exception_int_div_zero 0
	.end_amdhsa_kernel
	.section	.text._Z28segmented_warp_reduce_kernelIahLj15ELj100EENSt9enable_ifIXsr15benchmark_utilsE35device_test_enabled_for_warp_size_vIXT1_EEEvE4typeEPKT_PT0_PS3_,"axG",@progbits,_Z28segmented_warp_reduce_kernelIahLj15ELj100EENSt9enable_ifIXsr15benchmark_utilsE35device_test_enabled_for_warp_size_vIXT1_EEEvE4typeEPKT_PT0_PS3_,comdat
.Lfunc_end56:
	.size	_Z28segmented_warp_reduce_kernelIahLj15ELj100EENSt9enable_ifIXsr15benchmark_utilsE35device_test_enabled_for_warp_size_vIXT1_EEEvE4typeEPKT_PT0_PS3_, .Lfunc_end56-_Z28segmented_warp_reduce_kernelIahLj15ELj100EENSt9enable_ifIXsr15benchmark_utilsE35device_test_enabled_for_warp_size_vIXT1_EEEvE4typeEPKT_PT0_PS3_
                                        ; -- End function
	.section	.AMDGPU.csdata,"",@progbits
; Kernel info:
; codeLenInByte = 456
; NumSgprs: 18
; NumVgprs: 11
; ScratchSize: 0
; MemoryBound: 0
; FloatMode: 240
; IeeeMode: 1
; LDSByteSize: 15 bytes/workgroup (compile time only)
; SGPRBlocks: 2
; VGPRBlocks: 1
; NumSGPRsForWavesPerEU: 18
; NumVGPRsForWavesPerEU: 11
; Occupancy: 16
; WaveLimiterHint : 0
; COMPUTE_PGM_RSRC2:SCRATCH_EN: 0
; COMPUTE_PGM_RSRC2:USER_SGPR: 15
; COMPUTE_PGM_RSRC2:TRAP_HANDLER: 0
; COMPUTE_PGM_RSRC2:TGID_X_EN: 1
; COMPUTE_PGM_RSRC2:TGID_Y_EN: 0
; COMPUTE_PGM_RSRC2:TGID_Z_EN: 0
; COMPUTE_PGM_RSRC2:TIDIG_COMP_CNT: 0
	.section	.text._Z28segmented_warp_reduce_kernelIahLj16ELj100EENSt9enable_ifIXsr15benchmark_utilsE35device_test_enabled_for_warp_size_vIXT1_EEEvE4typeEPKT_PT0_PS3_,"axG",@progbits,_Z28segmented_warp_reduce_kernelIahLj16ELj100EENSt9enable_ifIXsr15benchmark_utilsE35device_test_enabled_for_warp_size_vIXT1_EEEvE4typeEPKT_PT0_PS3_,comdat
	.protected	_Z28segmented_warp_reduce_kernelIahLj16ELj100EENSt9enable_ifIXsr15benchmark_utilsE35device_test_enabled_for_warp_size_vIXT1_EEEvE4typeEPKT_PT0_PS3_ ; -- Begin function _Z28segmented_warp_reduce_kernelIahLj16ELj100EENSt9enable_ifIXsr15benchmark_utilsE35device_test_enabled_for_warp_size_vIXT1_EEEvE4typeEPKT_PT0_PS3_
	.globl	_Z28segmented_warp_reduce_kernelIahLj16ELj100EENSt9enable_ifIXsr15benchmark_utilsE35device_test_enabled_for_warp_size_vIXT1_EEEvE4typeEPKT_PT0_PS3_
	.p2align	8
	.type	_Z28segmented_warp_reduce_kernelIahLj16ELj100EENSt9enable_ifIXsr15benchmark_utilsE35device_test_enabled_for_warp_size_vIXT1_EEEvE4typeEPKT_PT0_PS3_,@function
_Z28segmented_warp_reduce_kernelIahLj16ELj100EENSt9enable_ifIXsr15benchmark_utilsE35device_test_enabled_for_warp_size_vIXT1_EEEvE4typeEPKT_PT0_PS3_: ; @_Z28segmented_warp_reduce_kernelIahLj16ELj100EENSt9enable_ifIXsr15benchmark_utilsE35device_test_enabled_for_warp_size_vIXT1_EEEvE4typeEPKT_PT0_PS3_
; %bb.0:
	s_clause 0x1
	s_load_b32 s2, s[0:1], 0x24
	s_load_b128 s[8:11], s[0:1], 0x0
	v_mbcnt_lo_u32_b32 v5, -1, 0
	s_load_b64 s[4:5], s[0:1], 0x10
	s_movk_i32 s3, 0x64
	s_delay_alu instid0(VALU_DEP_1) | instskip(SKIP_1) | instid1(VALU_DEP_2)
	v_and_b32_e32 v6, 15, v5
	v_and_b32_e32 v3, 16, v5
	v_add_nc_u32_e32 v7, 2, v6
	v_add_nc_u32_e32 v9, 4, v6
	v_add_nc_u32_e32 v11, 8, v6
	s_waitcnt lgkmcnt(0)
	s_and_b32 s2, s2, 0xffff
	s_delay_alu instid0(SALU_CYCLE_1)
	v_mad_u64_u32 v[1:2], null, s15, s2, v[0:1]
	s_clause 0x1
	global_load_u8 v2, v1, s[10:11]
	global_load_u8 v0, v1, s[8:9]
	s_waitcnt vmcnt(1)
	v_cmp_ne_u16_e32 vcc_lo, 0, v2
	v_cndmask_b32_e64 v2, 0, 1, vcc_lo
	s_delay_alu instid0(VALU_DEP_1) | instskip(SKIP_3) | instid1(VALU_DEP_2)
	v_cmp_ne_u32_e32 vcc_lo, 0, v2
	v_lshlrev_b32_e64 v2, v5, -1
	s_lshr_b32 s0, vcc_lo, 1
	v_cmp_ne_u32_e32 vcc_lo, 15, v6
	v_and_b32_e32 v2, s0, v2
	v_add_co_ci_u32_e32 v4, vcc_lo, 0, v5, vcc_lo
	v_cmp_gt_u32_e32 vcc_lo, 14, v6
	s_delay_alu instid0(VALU_DEP_3) | instskip(SKIP_2) | instid1(VALU_DEP_3)
	v_lshrrev_b32_e32 v2, v3, v2
	v_cndmask_b32_e64 v8, 0, 1, vcc_lo
	v_cmp_gt_u32_e32 vcc_lo, 12, v6
	v_or_b32_e32 v2, 0x8000, v2
	s_delay_alu instid0(VALU_DEP_3) | instskip(SKIP_2) | instid1(VALU_DEP_4)
	v_lshlrev_b32_e32 v8, 1, v8
	v_cndmask_b32_e64 v3, 0, 1, vcc_lo
	v_cmp_gt_u32_e32 vcc_lo, 8, v6
	v_ctz_i32_b32_e32 v13, v2
	v_lshlrev_b32_e32 v2, 2, v4
	s_delay_alu instid0(VALU_DEP_4)
	v_lshlrev_b32_e32 v12, 2, v3
	v_cndmask_b32_e64 v10, 0, 1, vcc_lo
	v_add_lshl_u32 v3, v8, v5, 2
	v_cmp_lt_u32_e32 vcc_lo, v6, v13
	v_cmp_gt_u32_e64 s0, v7, v13
	v_add_lshl_u32 v4, v12, v5, 2
	v_lshlrev_b32_e32 v10, 3, v10
	v_cmp_gt_u32_e64 s1, v9, v13
	v_cmp_le_u32_e64 s2, v11, v13
	s_delay_alu instid0(VALU_DEP_3)
	v_add_lshl_u32 v5, v10, v5, 2
	s_set_inst_prefetch_distance 0x1
	.p2align	6
.LBB57_1:                               ; =>This Inner Loop Header: Depth=1
	s_waitcnt vmcnt(0)
	s_delay_alu instid0(VALU_DEP_1) | instskip(SKIP_1) | instid1(SALU_CYCLE_1)
	v_and_b32_e32 v6, 0xff, v0
	s_add_i32 s3, s3, -1
	s_cmp_eq_u32 s3, 0
	ds_bpermute_b32 v7, v2, v6
	s_waitcnt lgkmcnt(0)
	v_add_nc_u16 v7, v0, v7
	s_delay_alu instid0(VALU_DEP_1) | instskip(NEXT) | instid1(VALU_DEP_1)
	v_and_b32_e32 v8, 0xff, v7
	v_dual_cndmask_b32 v7, v0, v7 :: v_dual_cndmask_b32 v6, v6, v8
	ds_bpermute_b32 v8, v3, v6
	s_waitcnt lgkmcnt(0)
	v_add_nc_u16 v8, v7, v8
	s_delay_alu instid0(VALU_DEP_1) | instskip(SKIP_1) | instid1(VALU_DEP_2)
	v_and_b32_e32 v9, 0xff, v8
	v_cndmask_b32_e64 v7, v8, v7, s0
	v_cndmask_b32_e64 v6, v9, v6, s0
	ds_bpermute_b32 v9, v4, v6
	s_waitcnt lgkmcnt(0)
	v_add_nc_u16 v8, v7, v9
	s_delay_alu instid0(VALU_DEP_1) | instskip(SKIP_1) | instid1(VALU_DEP_2)
	v_and_b32_e32 v9, 0xff, v8
	v_cndmask_b32_e64 v7, v8, v7, s1
	v_cndmask_b32_e64 v6, v9, v6, s1
	ds_bpermute_b32 v6, v5, v6
	s_waitcnt lgkmcnt(0)
	v_cndmask_b32_e64 v6, 0, v6, s2
	s_delay_alu instid0(VALU_DEP_1) | instskip(NEXT) | instid1(VALU_DEP_1)
	v_add_nc_u16 v6, v7, v6
	v_cndmask_b32_e32 v0, v0, v6, vcc_lo
	s_cbranch_scc0 .LBB57_1
; %bb.2:
	s_set_inst_prefetch_distance 0x2
	v_add_co_u32 v1, s0, s4, v1
	s_delay_alu instid0(VALU_DEP_1)
	v_add_co_ci_u32_e64 v2, null, s5, 0, s0
	global_store_b8 v[1:2], v0, off
	s_nop 0
	s_sendmsg sendmsg(MSG_DEALLOC_VGPRS)
	s_endpgm
	.section	.rodata,"a",@progbits
	.p2align	6, 0x0
	.amdhsa_kernel _Z28segmented_warp_reduce_kernelIahLj16ELj100EENSt9enable_ifIXsr15benchmark_utilsE35device_test_enabled_for_warp_size_vIXT1_EEEvE4typeEPKT_PT0_PS3_
		.amdhsa_group_segment_fixed_size 0
		.amdhsa_private_segment_fixed_size 0
		.amdhsa_kernarg_size 280
		.amdhsa_user_sgpr_count 15
		.amdhsa_user_sgpr_dispatch_ptr 0
		.amdhsa_user_sgpr_queue_ptr 0
		.amdhsa_user_sgpr_kernarg_segment_ptr 1
		.amdhsa_user_sgpr_dispatch_id 0
		.amdhsa_user_sgpr_private_segment_size 0
		.amdhsa_wavefront_size32 1
		.amdhsa_uses_dynamic_stack 0
		.amdhsa_enable_private_segment 0
		.amdhsa_system_sgpr_workgroup_id_x 1
		.amdhsa_system_sgpr_workgroup_id_y 0
		.amdhsa_system_sgpr_workgroup_id_z 0
		.amdhsa_system_sgpr_workgroup_info 0
		.amdhsa_system_vgpr_workitem_id 0
		.amdhsa_next_free_vgpr 14
		.amdhsa_next_free_sgpr 16
		.amdhsa_reserve_vcc 1
		.amdhsa_float_round_mode_32 0
		.amdhsa_float_round_mode_16_64 0
		.amdhsa_float_denorm_mode_32 3
		.amdhsa_float_denorm_mode_16_64 3
		.amdhsa_dx10_clamp 1
		.amdhsa_ieee_mode 1
		.amdhsa_fp16_overflow 0
		.amdhsa_workgroup_processor_mode 1
		.amdhsa_memory_ordered 1
		.amdhsa_forward_progress 0
		.amdhsa_shared_vgpr_count 0
		.amdhsa_exception_fp_ieee_invalid_op 0
		.amdhsa_exception_fp_denorm_src 0
		.amdhsa_exception_fp_ieee_div_zero 0
		.amdhsa_exception_fp_ieee_overflow 0
		.amdhsa_exception_fp_ieee_underflow 0
		.amdhsa_exception_fp_ieee_inexact 0
		.amdhsa_exception_int_div_zero 0
	.end_amdhsa_kernel
	.section	.text._Z28segmented_warp_reduce_kernelIahLj16ELj100EENSt9enable_ifIXsr15benchmark_utilsE35device_test_enabled_for_warp_size_vIXT1_EEEvE4typeEPKT_PT0_PS3_,"axG",@progbits,_Z28segmented_warp_reduce_kernelIahLj16ELj100EENSt9enable_ifIXsr15benchmark_utilsE35device_test_enabled_for_warp_size_vIXT1_EEEvE4typeEPKT_PT0_PS3_,comdat
.Lfunc_end57:
	.size	_Z28segmented_warp_reduce_kernelIahLj16ELj100EENSt9enable_ifIXsr15benchmark_utilsE35device_test_enabled_for_warp_size_vIXT1_EEEvE4typeEPKT_PT0_PS3_, .Lfunc_end57-_Z28segmented_warp_reduce_kernelIahLj16ELj100EENSt9enable_ifIXsr15benchmark_utilsE35device_test_enabled_for_warp_size_vIXT1_EEEvE4typeEPKT_PT0_PS3_
                                        ; -- End function
	.section	.AMDGPU.csdata,"",@progbits
; Kernel info:
; codeLenInByte = 540
; NumSgprs: 18
; NumVgprs: 14
; ScratchSize: 0
; MemoryBound: 0
; FloatMode: 240
; IeeeMode: 1
; LDSByteSize: 0 bytes/workgroup (compile time only)
; SGPRBlocks: 2
; VGPRBlocks: 1
; NumSGPRsForWavesPerEU: 18
; NumVGPRsForWavesPerEU: 14
; Occupancy: 16
; WaveLimiterHint : 0
; COMPUTE_PGM_RSRC2:SCRATCH_EN: 0
; COMPUTE_PGM_RSRC2:USER_SGPR: 15
; COMPUTE_PGM_RSRC2:TRAP_HANDLER: 0
; COMPUTE_PGM_RSRC2:TGID_X_EN: 1
; COMPUTE_PGM_RSRC2:TGID_Y_EN: 0
; COMPUTE_PGM_RSRC2:TGID_Z_EN: 0
; COMPUTE_PGM_RSRC2:TIDIG_COMP_CNT: 0
	.section	.text._Z28segmented_warp_reduce_kernelIahLj31ELj100EENSt9enable_ifIXsr15benchmark_utilsE35device_test_enabled_for_warp_size_vIXT1_EEEvE4typeEPKT_PT0_PS3_,"axG",@progbits,_Z28segmented_warp_reduce_kernelIahLj31ELj100EENSt9enable_ifIXsr15benchmark_utilsE35device_test_enabled_for_warp_size_vIXT1_EEEvE4typeEPKT_PT0_PS3_,comdat
	.protected	_Z28segmented_warp_reduce_kernelIahLj31ELj100EENSt9enable_ifIXsr15benchmark_utilsE35device_test_enabled_for_warp_size_vIXT1_EEEvE4typeEPKT_PT0_PS3_ ; -- Begin function _Z28segmented_warp_reduce_kernelIahLj31ELj100EENSt9enable_ifIXsr15benchmark_utilsE35device_test_enabled_for_warp_size_vIXT1_EEEvE4typeEPKT_PT0_PS3_
	.globl	_Z28segmented_warp_reduce_kernelIahLj31ELj100EENSt9enable_ifIXsr15benchmark_utilsE35device_test_enabled_for_warp_size_vIXT1_EEEvE4typeEPKT_PT0_PS3_
	.p2align	8
	.type	_Z28segmented_warp_reduce_kernelIahLj31ELj100EENSt9enable_ifIXsr15benchmark_utilsE35device_test_enabled_for_warp_size_vIXT1_EEEvE4typeEPKT_PT0_PS3_,@function
_Z28segmented_warp_reduce_kernelIahLj31ELj100EENSt9enable_ifIXsr15benchmark_utilsE35device_test_enabled_for_warp_size_vIXT1_EEEvE4typeEPKT_PT0_PS3_: ; @_Z28segmented_warp_reduce_kernelIahLj31ELj100EENSt9enable_ifIXsr15benchmark_utilsE35device_test_enabled_for_warp_size_vIXT1_EEEvE4typeEPKT_PT0_PS3_
; %bb.0:
	s_clause 0x1
	s_load_b32 s2, s[0:1], 0x24
	s_load_b128 s[4:7], s[0:1], 0x0
	v_mbcnt_lo_u32_b32 v4, -1, 0
	s_load_b64 s[0:1], s[0:1], 0x10
	s_waitcnt lgkmcnt(0)
	s_and_b32 s2, s2, 0xffff
	s_delay_alu instid0(SALU_CYCLE_1)
	v_mad_u64_u32 v[1:2], null, s15, s2, v[0:1]
	v_mul_hi_u32 v2, 0x8421085, v4
	s_movk_i32 s2, 0x64
	s_clause 0x1
	global_load_u8 v9, v1, s[6:7]
	global_load_u8 v0, v1, s[4:5]
	v_mul_u32_u24_e32 v2, 31, v2
	s_delay_alu instid0(VALU_DEP_1) | instskip(SKIP_1) | instid1(VALU_DEP_2)
	v_sub_nc_u32_e32 v3, v4, v2
	v_lshlrev_b32_e64 v4, v4, -1
	v_add_nc_u32_e32 v5, 2, v3
	v_add_nc_u32_e32 v6, 4, v3
	;; [unrolled: 1-line block ×4, first 2 shown]
	s_waitcnt vmcnt(1)
	v_cmp_ne_u16_e32 vcc_lo, 0, v9
	v_cndmask_b32_e64 v9, 0, 1, vcc_lo
	s_branch .LBB58_2
.LBB58_1:                               ;   in Loop: Header=BB58_2 Depth=1
	s_or_b32 exec_lo, exec_lo, s3
	s_add_i32 s2, s2, -1
	s_delay_alu instid0(SALU_CYCLE_1)
	s_cmp_eq_u32 s2, 0
	; wave barrier
	s_cbranch_scc1 .LBB58_12
.LBB58_2:                               ; =>This Inner Loop Header: Depth=1
	s_delay_alu instid0(VALU_DEP_1) | instskip(SKIP_3) | instid1(SALU_CYCLE_1)
	v_cmp_ne_u32_e32 vcc_lo, 0, v9
	s_waitcnt vmcnt(0)
	ds_store_b8 v3, v0
	; wave barrier
	s_lshr_b32 s3, vcc_lo, 1
	v_and_b32_e32 v10, s3, v4
	s_mov_b32 s3, exec_lo
	s_delay_alu instid0(VALU_DEP_1) | instskip(NEXT) | instid1(VALU_DEP_1)
	v_lshrrev_b32_e32 v10, v2, v10
	v_or_b32_e32 v10, 2.0, v10
	s_delay_alu instid0(VALU_DEP_1) | instskip(NEXT) | instid1(VALU_DEP_1)
	v_ctz_i32_b32_e32 v10, v10
	v_cmpx_lt_u32_e64 v3, v10
	s_cbranch_execz .LBB58_4
; %bb.3:                                ;   in Loop: Header=BB58_2 Depth=1
	ds_load_u8 v11, v3 offset:1
	s_waitcnt lgkmcnt(0)
	v_add_nc_u16 v0, v11, v0
.LBB58_4:                               ;   in Loop: Header=BB58_2 Depth=1
	s_or_b32 exec_lo, exec_lo, s3
	s_delay_alu instid0(SALU_CYCLE_1)
	s_mov_b32 s3, exec_lo
	; wave barrier
	ds_store_b8 v3, v0
	; wave barrier
	v_cmpx_le_u32_e64 v5, v10
	s_cbranch_execz .LBB58_6
; %bb.5:                                ;   in Loop: Header=BB58_2 Depth=1
	ds_load_u8 v11, v3 offset:2
	s_waitcnt lgkmcnt(0)
	v_add_nc_u16 v0, v11, v0
.LBB58_6:                               ;   in Loop: Header=BB58_2 Depth=1
	s_or_b32 exec_lo, exec_lo, s3
	s_delay_alu instid0(SALU_CYCLE_1)
	s_mov_b32 s3, exec_lo
	; wave barrier
	ds_store_b8 v3, v0
	; wave barrier
	v_cmpx_le_u32_e64 v6, v10
	s_cbranch_execz .LBB58_8
; %bb.7:                                ;   in Loop: Header=BB58_2 Depth=1
	ds_load_u8 v11, v3 offset:4
	s_waitcnt lgkmcnt(0)
	v_add_nc_u16 v0, v11, v0
.LBB58_8:                               ;   in Loop: Header=BB58_2 Depth=1
	s_or_b32 exec_lo, exec_lo, s3
	s_delay_alu instid0(SALU_CYCLE_1)
	s_mov_b32 s3, exec_lo
	; wave barrier
	ds_store_b8 v3, v0
	; wave barrier
	v_cmpx_le_u32_e64 v7, v10
	s_cbranch_execz .LBB58_10
; %bb.9:                                ;   in Loop: Header=BB58_2 Depth=1
	ds_load_u8 v11, v3 offset:8
	s_waitcnt lgkmcnt(0)
	v_add_nc_u16 v0, v11, v0
.LBB58_10:                              ;   in Loop: Header=BB58_2 Depth=1
	s_or_b32 exec_lo, exec_lo, s3
	s_delay_alu instid0(SALU_CYCLE_1)
	s_mov_b32 s3, exec_lo
	; wave barrier
	ds_store_b8 v3, v0
	; wave barrier
	v_cmpx_le_u32_e64 v8, v10
	s_cbranch_execz .LBB58_1
; %bb.11:                               ;   in Loop: Header=BB58_2 Depth=1
	ds_load_u8 v10, v3 offset:16
	s_waitcnt lgkmcnt(0)
	v_add_nc_u16 v0, v10, v0
	s_branch .LBB58_1
.LBB58_12:
	v_add_co_u32 v1, s0, s0, v1
	s_delay_alu instid0(VALU_DEP_1)
	v_add_co_ci_u32_e64 v2, null, s1, 0, s0
	global_store_b8 v[1:2], v0, off
	s_nop 0
	s_sendmsg sendmsg(MSG_DEALLOC_VGPRS)
	s_endpgm
	.section	.rodata,"a",@progbits
	.p2align	6, 0x0
	.amdhsa_kernel _Z28segmented_warp_reduce_kernelIahLj31ELj100EENSt9enable_ifIXsr15benchmark_utilsE35device_test_enabled_for_warp_size_vIXT1_EEEvE4typeEPKT_PT0_PS3_
		.amdhsa_group_segment_fixed_size 31
		.amdhsa_private_segment_fixed_size 0
		.amdhsa_kernarg_size 280
		.amdhsa_user_sgpr_count 15
		.amdhsa_user_sgpr_dispatch_ptr 0
		.amdhsa_user_sgpr_queue_ptr 0
		.amdhsa_user_sgpr_kernarg_segment_ptr 1
		.amdhsa_user_sgpr_dispatch_id 0
		.amdhsa_user_sgpr_private_segment_size 0
		.amdhsa_wavefront_size32 1
		.amdhsa_uses_dynamic_stack 0
		.amdhsa_enable_private_segment 0
		.amdhsa_system_sgpr_workgroup_id_x 1
		.amdhsa_system_sgpr_workgroup_id_y 0
		.amdhsa_system_sgpr_workgroup_id_z 0
		.amdhsa_system_sgpr_workgroup_info 0
		.amdhsa_system_vgpr_workitem_id 0
		.amdhsa_next_free_vgpr 12
		.amdhsa_next_free_sgpr 16
		.amdhsa_reserve_vcc 1
		.amdhsa_float_round_mode_32 0
		.amdhsa_float_round_mode_16_64 0
		.amdhsa_float_denorm_mode_32 3
		.amdhsa_float_denorm_mode_16_64 3
		.amdhsa_dx10_clamp 1
		.amdhsa_ieee_mode 1
		.amdhsa_fp16_overflow 0
		.amdhsa_workgroup_processor_mode 1
		.amdhsa_memory_ordered 1
		.amdhsa_forward_progress 0
		.amdhsa_shared_vgpr_count 0
		.amdhsa_exception_fp_ieee_invalid_op 0
		.amdhsa_exception_fp_denorm_src 0
		.amdhsa_exception_fp_ieee_div_zero 0
		.amdhsa_exception_fp_ieee_overflow 0
		.amdhsa_exception_fp_ieee_underflow 0
		.amdhsa_exception_fp_ieee_inexact 0
		.amdhsa_exception_int_div_zero 0
	.end_amdhsa_kernel
	.section	.text._Z28segmented_warp_reduce_kernelIahLj31ELj100EENSt9enable_ifIXsr15benchmark_utilsE35device_test_enabled_for_warp_size_vIXT1_EEEvE4typeEPKT_PT0_PS3_,"axG",@progbits,_Z28segmented_warp_reduce_kernelIahLj31ELj100EENSt9enable_ifIXsr15benchmark_utilsE35device_test_enabled_for_warp_size_vIXT1_EEEvE4typeEPKT_PT0_PS3_,comdat
.Lfunc_end58:
	.size	_Z28segmented_warp_reduce_kernelIahLj31ELj100EENSt9enable_ifIXsr15benchmark_utilsE35device_test_enabled_for_warp_size_vIXT1_EEEvE4typeEPKT_PT0_PS3_, .Lfunc_end58-_Z28segmented_warp_reduce_kernelIahLj31ELj100EENSt9enable_ifIXsr15benchmark_utilsE35device_test_enabled_for_warp_size_vIXT1_EEEvE4typeEPKT_PT0_PS3_
                                        ; -- End function
	.section	.AMDGPU.csdata,"",@progbits
; Kernel info:
; codeLenInByte = 508
; NumSgprs: 18
; NumVgprs: 12
; ScratchSize: 0
; MemoryBound: 0
; FloatMode: 240
; IeeeMode: 1
; LDSByteSize: 31 bytes/workgroup (compile time only)
; SGPRBlocks: 2
; VGPRBlocks: 1
; NumSGPRsForWavesPerEU: 18
; NumVGPRsForWavesPerEU: 12
; Occupancy: 16
; WaveLimiterHint : 0
; COMPUTE_PGM_RSRC2:SCRATCH_EN: 0
; COMPUTE_PGM_RSRC2:USER_SGPR: 15
; COMPUTE_PGM_RSRC2:TRAP_HANDLER: 0
; COMPUTE_PGM_RSRC2:TGID_X_EN: 1
; COMPUTE_PGM_RSRC2:TGID_Y_EN: 0
; COMPUTE_PGM_RSRC2:TGID_Z_EN: 0
; COMPUTE_PGM_RSRC2:TIDIG_COMP_CNT: 0
	.section	.text._Z28segmented_warp_reduce_kernelIahLj32ELj100EENSt9enable_ifIXsr15benchmark_utilsE35device_test_enabled_for_warp_size_vIXT1_EEEvE4typeEPKT_PT0_PS3_,"axG",@progbits,_Z28segmented_warp_reduce_kernelIahLj32ELj100EENSt9enable_ifIXsr15benchmark_utilsE35device_test_enabled_for_warp_size_vIXT1_EEEvE4typeEPKT_PT0_PS3_,comdat
	.protected	_Z28segmented_warp_reduce_kernelIahLj32ELj100EENSt9enable_ifIXsr15benchmark_utilsE35device_test_enabled_for_warp_size_vIXT1_EEEvE4typeEPKT_PT0_PS3_ ; -- Begin function _Z28segmented_warp_reduce_kernelIahLj32ELj100EENSt9enable_ifIXsr15benchmark_utilsE35device_test_enabled_for_warp_size_vIXT1_EEEvE4typeEPKT_PT0_PS3_
	.globl	_Z28segmented_warp_reduce_kernelIahLj32ELj100EENSt9enable_ifIXsr15benchmark_utilsE35device_test_enabled_for_warp_size_vIXT1_EEEvE4typeEPKT_PT0_PS3_
	.p2align	8
	.type	_Z28segmented_warp_reduce_kernelIahLj32ELj100EENSt9enable_ifIXsr15benchmark_utilsE35device_test_enabled_for_warp_size_vIXT1_EEEvE4typeEPKT_PT0_PS3_,@function
_Z28segmented_warp_reduce_kernelIahLj32ELj100EENSt9enable_ifIXsr15benchmark_utilsE35device_test_enabled_for_warp_size_vIXT1_EEEvE4typeEPKT_PT0_PS3_: ; @_Z28segmented_warp_reduce_kernelIahLj32ELj100EENSt9enable_ifIXsr15benchmark_utilsE35device_test_enabled_for_warp_size_vIXT1_EEEvE4typeEPKT_PT0_PS3_
; %bb.0:
	s_clause 0x1
	s_load_b32 s2, s[0:1], 0x24
	s_load_b128 s[8:11], s[0:1], 0x0
	v_mbcnt_lo_u32_b32 v6, -1, 0
	s_load_b64 s[6:7], s[0:1], 0x10
	s_movk_i32 s5, 0x64
	s_delay_alu instid0(VALU_DEP_1)
	v_cmp_ne_u32_e32 vcc_lo, 31, v6
	v_cmp_gt_u32_e64 s0, 28, v6
	v_lshlrev_b32_e64 v3, v6, -1
	v_add_nc_u32_e32 v7, 1, v6
	v_add_nc_u32_e32 v8, 2, v6
	v_add_co_ci_u32_e32 v4, vcc_lo, 0, v6, vcc_lo
	v_add_nc_u32_e32 v9, 4, v6
	v_add_nc_u32_e32 v11, 8, v6
	s_waitcnt lgkmcnt(0)
	s_and_b32 s2, s2, 0xffff
	s_delay_alu instid0(SALU_CYCLE_1)
	v_mad_u64_u32 v[1:2], null, s15, s2, v[0:1]
	s_clause 0x1
	global_load_u8 v2, v1, s[10:11]
	global_load_u8 v0, v1, s[8:9]
	s_waitcnt vmcnt(1)
	v_cmp_ne_u16_e32 vcc_lo, 0, v2
	v_cndmask_b32_e64 v2, 0, 1, vcc_lo
	v_cmp_gt_u32_e32 vcc_lo, 30, v6
	v_cndmask_b32_e64 v5, 0, 1, vcc_lo
	s_delay_alu instid0(VALU_DEP_3) | instskip(SKIP_2) | instid1(VALU_DEP_4)
	v_cmp_ne_u32_e32 vcc_lo, 0, v2
	v_cndmask_b32_e64 v2, 0, 1, s0
	v_cmp_gt_u32_e64 s0, 24, v6
	v_lshlrev_b32_e32 v5, 1, v5
	s_delay_alu instid0(VALU_DEP_3) | instskip(NEXT) | instid1(VALU_DEP_3)
	v_lshlrev_b32_e32 v13, 2, v2
	v_cndmask_b32_e64 v10, 0, 1, s0
	s_lshr_b32 s0, vcc_lo, 1
	v_cmp_gt_u32_e32 vcc_lo, 16, v6
	v_and_or_b32 v3, v3, s0, 0x80000000
	v_lshlrev_b32_e32 v2, 2, v4
	v_lshlrev_b32_e32 v10, 3, v10
	v_add_lshl_u32 v4, v13, v6, 2
	v_cndmask_b32_e64 v12, 0, 1, vcc_lo
	v_ctz_i32_b32_e32 v14, v3
	v_add_lshl_u32 v3, v5, v6, 2
	v_add_lshl_u32 v5, v10, v6, 2
	s_delay_alu instid0(VALU_DEP_3)
	v_cmp_le_u32_e32 vcc_lo, v7, v14
	v_cmp_le_u32_e64 s0, v8, v14
	v_add_nc_u32_e32 v7, 16, v6
	v_cmp_le_u32_e64 s1, v9, v14
	v_lshlrev_b32_e32 v8, 4, v12
	v_cmp_le_u32_e64 s2, v11, v14
	s_or_b32 s4, vcc_lo, s0
	v_cmp_le_u32_e64 s3, v7, v14
	s_or_b32 s4, s1, s4
	v_add_lshl_u32 v6, v8, v6, 2
	s_or_b32 s4, s2, s4
	s_delay_alu instid0(VALU_DEP_2) | instid1(SALU_CYCLE_1)
	s_or_b32 s4, s3, s4
.LBB59_1:                               ; =>This Inner Loop Header: Depth=1
	s_waitcnt vmcnt(0)
	s_delay_alu instid0(VALU_DEP_1) | instskip(SKIP_1) | instid1(SALU_CYCLE_1)
	v_and_b32_e32 v7, 0xff, v0
	s_add_i32 s5, s5, -1
	s_cmp_eq_u32 s5, 0
	ds_bpermute_b32 v8, v2, v7
	s_waitcnt lgkmcnt(0)
	v_add_nc_u16 v8, v0, v8
	s_delay_alu instid0(VALU_DEP_1) | instskip(NEXT) | instid1(VALU_DEP_1)
	v_and_b32_e32 v9, 0xff, v8
	v_dual_cndmask_b32 v8, v0, v8 :: v_dual_cndmask_b32 v7, v7, v9
	ds_bpermute_b32 v9, v3, v7
	s_waitcnt lgkmcnt(0)
	v_add_nc_u16 v9, v8, v9
	s_delay_alu instid0(VALU_DEP_1) | instskip(SKIP_1) | instid1(VALU_DEP_2)
	v_and_b32_e32 v10, 0xff, v9
	v_cndmask_b32_e64 v8, v8, v9, s0
	v_cndmask_b32_e64 v7, v7, v10, s0
	ds_bpermute_b32 v10, v4, v7
	s_waitcnt lgkmcnt(0)
	v_add_nc_u16 v9, v8, v10
	s_delay_alu instid0(VALU_DEP_1) | instskip(SKIP_1) | instid1(VALU_DEP_2)
	v_and_b32_e32 v10, 0xff, v9
	v_cndmask_b32_e64 v8, v8, v9, s1
	v_cndmask_b32_e64 v7, v7, v10, s1
	;; [unrolled: 7-line block ×3, first 2 shown]
	ds_bpermute_b32 v7, v6, v7
	s_waitcnt lgkmcnt(0)
	v_cndmask_b32_e64 v7, 0, v7, s3
	s_delay_alu instid0(VALU_DEP_1) | instskip(NEXT) | instid1(VALU_DEP_1)
	v_add_nc_u16 v7, v8, v7
	v_cndmask_b32_e64 v0, v0, v7, s4
	s_cbranch_scc0 .LBB59_1
; %bb.2:
	v_add_co_u32 v1, s0, s6, v1
	s_delay_alu instid0(VALU_DEP_1)
	v_add_co_ci_u32_e64 v2, null, s7, 0, s0
	global_store_b8 v[1:2], v0, off
	s_nop 0
	s_sendmsg sendmsg(MSG_DEALLOC_VGPRS)
	s_endpgm
	.section	.rodata,"a",@progbits
	.p2align	6, 0x0
	.amdhsa_kernel _Z28segmented_warp_reduce_kernelIahLj32ELj100EENSt9enable_ifIXsr15benchmark_utilsE35device_test_enabled_for_warp_size_vIXT1_EEEvE4typeEPKT_PT0_PS3_
		.amdhsa_group_segment_fixed_size 0
		.amdhsa_private_segment_fixed_size 0
		.amdhsa_kernarg_size 280
		.amdhsa_user_sgpr_count 15
		.amdhsa_user_sgpr_dispatch_ptr 0
		.amdhsa_user_sgpr_queue_ptr 0
		.amdhsa_user_sgpr_kernarg_segment_ptr 1
		.amdhsa_user_sgpr_dispatch_id 0
		.amdhsa_user_sgpr_private_segment_size 0
		.amdhsa_wavefront_size32 1
		.amdhsa_uses_dynamic_stack 0
		.amdhsa_enable_private_segment 0
		.amdhsa_system_sgpr_workgroup_id_x 1
		.amdhsa_system_sgpr_workgroup_id_y 0
		.amdhsa_system_sgpr_workgroup_id_z 0
		.amdhsa_system_sgpr_workgroup_info 0
		.amdhsa_system_vgpr_workitem_id 0
		.amdhsa_next_free_vgpr 15
		.amdhsa_next_free_sgpr 16
		.amdhsa_reserve_vcc 1
		.amdhsa_float_round_mode_32 0
		.amdhsa_float_round_mode_16_64 0
		.amdhsa_float_denorm_mode_32 3
		.amdhsa_float_denorm_mode_16_64 3
		.amdhsa_dx10_clamp 1
		.amdhsa_ieee_mode 1
		.amdhsa_fp16_overflow 0
		.amdhsa_workgroup_processor_mode 1
		.amdhsa_memory_ordered 1
		.amdhsa_forward_progress 0
		.amdhsa_shared_vgpr_count 0
		.amdhsa_exception_fp_ieee_invalid_op 0
		.amdhsa_exception_fp_denorm_src 0
		.amdhsa_exception_fp_ieee_div_zero 0
		.amdhsa_exception_fp_ieee_overflow 0
		.amdhsa_exception_fp_ieee_underflow 0
		.amdhsa_exception_fp_ieee_inexact 0
		.amdhsa_exception_int_div_zero 0
	.end_amdhsa_kernel
	.section	.text._Z28segmented_warp_reduce_kernelIahLj32ELj100EENSt9enable_ifIXsr15benchmark_utilsE35device_test_enabled_for_warp_size_vIXT1_EEEvE4typeEPKT_PT0_PS3_,"axG",@progbits,_Z28segmented_warp_reduce_kernelIahLj32ELj100EENSt9enable_ifIXsr15benchmark_utilsE35device_test_enabled_for_warp_size_vIXT1_EEEvE4typeEPKT_PT0_PS3_,comdat
.Lfunc_end59:
	.size	_Z28segmented_warp_reduce_kernelIahLj32ELj100EENSt9enable_ifIXsr15benchmark_utilsE35device_test_enabled_for_warp_size_vIXT1_EEEvE4typeEPKT_PT0_PS3_, .Lfunc_end59-_Z28segmented_warp_reduce_kernelIahLj32ELj100EENSt9enable_ifIXsr15benchmark_utilsE35device_test_enabled_for_warp_size_vIXT1_EEEvE4typeEPKT_PT0_PS3_
                                        ; -- End function
	.section	.AMDGPU.csdata,"",@progbits
; Kernel info:
; codeLenInByte = 632
; NumSgprs: 18
; NumVgprs: 15
; ScratchSize: 0
; MemoryBound: 0
; FloatMode: 240
; IeeeMode: 1
; LDSByteSize: 0 bytes/workgroup (compile time only)
; SGPRBlocks: 2
; VGPRBlocks: 1
; NumSGPRsForWavesPerEU: 18
; NumVGPRsForWavesPerEU: 15
; Occupancy: 16
; WaveLimiterHint : 0
; COMPUTE_PGM_RSRC2:SCRATCH_EN: 0
; COMPUTE_PGM_RSRC2:USER_SGPR: 15
; COMPUTE_PGM_RSRC2:TRAP_HANDLER: 0
; COMPUTE_PGM_RSRC2:TGID_X_EN: 1
; COMPUTE_PGM_RSRC2:TGID_Y_EN: 0
; COMPUTE_PGM_RSRC2:TGID_Z_EN: 0
; COMPUTE_PGM_RSRC2:TIDIG_COMP_CNT: 0
	.section	.text._Z28segmented_warp_reduce_kernelIahLj37ELj100EENSt9enable_ifIXntsr15benchmark_utilsE35device_test_enabled_for_warp_size_vIXT1_EEEvE4typeEPKT_PT0_PS3_,"axG",@progbits,_Z28segmented_warp_reduce_kernelIahLj37ELj100EENSt9enable_ifIXntsr15benchmark_utilsE35device_test_enabled_for_warp_size_vIXT1_EEEvE4typeEPKT_PT0_PS3_,comdat
	.protected	_Z28segmented_warp_reduce_kernelIahLj37ELj100EENSt9enable_ifIXntsr15benchmark_utilsE35device_test_enabled_for_warp_size_vIXT1_EEEvE4typeEPKT_PT0_PS3_ ; -- Begin function _Z28segmented_warp_reduce_kernelIahLj37ELj100EENSt9enable_ifIXntsr15benchmark_utilsE35device_test_enabled_for_warp_size_vIXT1_EEEvE4typeEPKT_PT0_PS3_
	.globl	_Z28segmented_warp_reduce_kernelIahLj37ELj100EENSt9enable_ifIXntsr15benchmark_utilsE35device_test_enabled_for_warp_size_vIXT1_EEEvE4typeEPKT_PT0_PS3_
	.p2align	8
	.type	_Z28segmented_warp_reduce_kernelIahLj37ELj100EENSt9enable_ifIXntsr15benchmark_utilsE35device_test_enabled_for_warp_size_vIXT1_EEEvE4typeEPKT_PT0_PS3_,@function
_Z28segmented_warp_reduce_kernelIahLj37ELj100EENSt9enable_ifIXntsr15benchmark_utilsE35device_test_enabled_for_warp_size_vIXT1_EEEvE4typeEPKT_PT0_PS3_: ; @_Z28segmented_warp_reduce_kernelIahLj37ELj100EENSt9enable_ifIXntsr15benchmark_utilsE35device_test_enabled_for_warp_size_vIXT1_EEEvE4typeEPKT_PT0_PS3_
; %bb.0:
	s_endpgm
	.section	.rodata,"a",@progbits
	.p2align	6, 0x0
	.amdhsa_kernel _Z28segmented_warp_reduce_kernelIahLj37ELj100EENSt9enable_ifIXntsr15benchmark_utilsE35device_test_enabled_for_warp_size_vIXT1_EEEvE4typeEPKT_PT0_PS3_
		.amdhsa_group_segment_fixed_size 0
		.amdhsa_private_segment_fixed_size 0
		.amdhsa_kernarg_size 24
		.amdhsa_user_sgpr_count 15
		.amdhsa_user_sgpr_dispatch_ptr 0
		.amdhsa_user_sgpr_queue_ptr 0
		.amdhsa_user_sgpr_kernarg_segment_ptr 1
		.amdhsa_user_sgpr_dispatch_id 0
		.amdhsa_user_sgpr_private_segment_size 0
		.amdhsa_wavefront_size32 1
		.amdhsa_uses_dynamic_stack 0
		.amdhsa_enable_private_segment 0
		.amdhsa_system_sgpr_workgroup_id_x 1
		.amdhsa_system_sgpr_workgroup_id_y 0
		.amdhsa_system_sgpr_workgroup_id_z 0
		.amdhsa_system_sgpr_workgroup_info 0
		.amdhsa_system_vgpr_workitem_id 0
		.amdhsa_next_free_vgpr 1
		.amdhsa_next_free_sgpr 1
		.amdhsa_reserve_vcc 0
		.amdhsa_float_round_mode_32 0
		.amdhsa_float_round_mode_16_64 0
		.amdhsa_float_denorm_mode_32 3
		.amdhsa_float_denorm_mode_16_64 3
		.amdhsa_dx10_clamp 1
		.amdhsa_ieee_mode 1
		.amdhsa_fp16_overflow 0
		.amdhsa_workgroup_processor_mode 1
		.amdhsa_memory_ordered 1
		.amdhsa_forward_progress 0
		.amdhsa_shared_vgpr_count 0
		.amdhsa_exception_fp_ieee_invalid_op 0
		.amdhsa_exception_fp_denorm_src 0
		.amdhsa_exception_fp_ieee_div_zero 0
		.amdhsa_exception_fp_ieee_overflow 0
		.amdhsa_exception_fp_ieee_underflow 0
		.amdhsa_exception_fp_ieee_inexact 0
		.amdhsa_exception_int_div_zero 0
	.end_amdhsa_kernel
	.section	.text._Z28segmented_warp_reduce_kernelIahLj37ELj100EENSt9enable_ifIXntsr15benchmark_utilsE35device_test_enabled_for_warp_size_vIXT1_EEEvE4typeEPKT_PT0_PS3_,"axG",@progbits,_Z28segmented_warp_reduce_kernelIahLj37ELj100EENSt9enable_ifIXntsr15benchmark_utilsE35device_test_enabled_for_warp_size_vIXT1_EEEvE4typeEPKT_PT0_PS3_,comdat
.Lfunc_end60:
	.size	_Z28segmented_warp_reduce_kernelIahLj37ELj100EENSt9enable_ifIXntsr15benchmark_utilsE35device_test_enabled_for_warp_size_vIXT1_EEEvE4typeEPKT_PT0_PS3_, .Lfunc_end60-_Z28segmented_warp_reduce_kernelIahLj37ELj100EENSt9enable_ifIXntsr15benchmark_utilsE35device_test_enabled_for_warp_size_vIXT1_EEEvE4typeEPKT_PT0_PS3_
                                        ; -- End function
	.section	.AMDGPU.csdata,"",@progbits
; Kernel info:
; codeLenInByte = 4
; NumSgprs: 0
; NumVgprs: 0
; ScratchSize: 0
; MemoryBound: 0
; FloatMode: 240
; IeeeMode: 1
; LDSByteSize: 0 bytes/workgroup (compile time only)
; SGPRBlocks: 0
; VGPRBlocks: 0
; NumSGPRsForWavesPerEU: 1
; NumVGPRsForWavesPerEU: 1
; Occupancy: 16
; WaveLimiterHint : 0
; COMPUTE_PGM_RSRC2:SCRATCH_EN: 0
; COMPUTE_PGM_RSRC2:USER_SGPR: 15
; COMPUTE_PGM_RSRC2:TRAP_HANDLER: 0
; COMPUTE_PGM_RSRC2:TGID_X_EN: 1
; COMPUTE_PGM_RSRC2:TGID_Y_EN: 0
; COMPUTE_PGM_RSRC2:TGID_Z_EN: 0
; COMPUTE_PGM_RSRC2:TIDIG_COMP_CNT: 0
	.section	.text._Z28segmented_warp_reduce_kernelIahLj61ELj100EENSt9enable_ifIXntsr15benchmark_utilsE35device_test_enabled_for_warp_size_vIXT1_EEEvE4typeEPKT_PT0_PS3_,"axG",@progbits,_Z28segmented_warp_reduce_kernelIahLj61ELj100EENSt9enable_ifIXntsr15benchmark_utilsE35device_test_enabled_for_warp_size_vIXT1_EEEvE4typeEPKT_PT0_PS3_,comdat
	.protected	_Z28segmented_warp_reduce_kernelIahLj61ELj100EENSt9enable_ifIXntsr15benchmark_utilsE35device_test_enabled_for_warp_size_vIXT1_EEEvE4typeEPKT_PT0_PS3_ ; -- Begin function _Z28segmented_warp_reduce_kernelIahLj61ELj100EENSt9enable_ifIXntsr15benchmark_utilsE35device_test_enabled_for_warp_size_vIXT1_EEEvE4typeEPKT_PT0_PS3_
	.globl	_Z28segmented_warp_reduce_kernelIahLj61ELj100EENSt9enable_ifIXntsr15benchmark_utilsE35device_test_enabled_for_warp_size_vIXT1_EEEvE4typeEPKT_PT0_PS3_
	.p2align	8
	.type	_Z28segmented_warp_reduce_kernelIahLj61ELj100EENSt9enable_ifIXntsr15benchmark_utilsE35device_test_enabled_for_warp_size_vIXT1_EEEvE4typeEPKT_PT0_PS3_,@function
_Z28segmented_warp_reduce_kernelIahLj61ELj100EENSt9enable_ifIXntsr15benchmark_utilsE35device_test_enabled_for_warp_size_vIXT1_EEEvE4typeEPKT_PT0_PS3_: ; @_Z28segmented_warp_reduce_kernelIahLj61ELj100EENSt9enable_ifIXntsr15benchmark_utilsE35device_test_enabled_for_warp_size_vIXT1_EEEvE4typeEPKT_PT0_PS3_
; %bb.0:
	s_endpgm
	.section	.rodata,"a",@progbits
	.p2align	6, 0x0
	.amdhsa_kernel _Z28segmented_warp_reduce_kernelIahLj61ELj100EENSt9enable_ifIXntsr15benchmark_utilsE35device_test_enabled_for_warp_size_vIXT1_EEEvE4typeEPKT_PT0_PS3_
		.amdhsa_group_segment_fixed_size 0
		.amdhsa_private_segment_fixed_size 0
		.amdhsa_kernarg_size 24
		.amdhsa_user_sgpr_count 15
		.amdhsa_user_sgpr_dispatch_ptr 0
		.amdhsa_user_sgpr_queue_ptr 0
		.amdhsa_user_sgpr_kernarg_segment_ptr 1
		.amdhsa_user_sgpr_dispatch_id 0
		.amdhsa_user_sgpr_private_segment_size 0
		.amdhsa_wavefront_size32 1
		.amdhsa_uses_dynamic_stack 0
		.amdhsa_enable_private_segment 0
		.amdhsa_system_sgpr_workgroup_id_x 1
		.amdhsa_system_sgpr_workgroup_id_y 0
		.amdhsa_system_sgpr_workgroup_id_z 0
		.amdhsa_system_sgpr_workgroup_info 0
		.amdhsa_system_vgpr_workitem_id 0
		.amdhsa_next_free_vgpr 1
		.amdhsa_next_free_sgpr 1
		.amdhsa_reserve_vcc 0
		.amdhsa_float_round_mode_32 0
		.amdhsa_float_round_mode_16_64 0
		.amdhsa_float_denorm_mode_32 3
		.amdhsa_float_denorm_mode_16_64 3
		.amdhsa_dx10_clamp 1
		.amdhsa_ieee_mode 1
		.amdhsa_fp16_overflow 0
		.amdhsa_workgroup_processor_mode 1
		.amdhsa_memory_ordered 1
		.amdhsa_forward_progress 0
		.amdhsa_shared_vgpr_count 0
		.amdhsa_exception_fp_ieee_invalid_op 0
		.amdhsa_exception_fp_denorm_src 0
		.amdhsa_exception_fp_ieee_div_zero 0
		.amdhsa_exception_fp_ieee_overflow 0
		.amdhsa_exception_fp_ieee_underflow 0
		.amdhsa_exception_fp_ieee_inexact 0
		.amdhsa_exception_int_div_zero 0
	.end_amdhsa_kernel
	.section	.text._Z28segmented_warp_reduce_kernelIahLj61ELj100EENSt9enable_ifIXntsr15benchmark_utilsE35device_test_enabled_for_warp_size_vIXT1_EEEvE4typeEPKT_PT0_PS3_,"axG",@progbits,_Z28segmented_warp_reduce_kernelIahLj61ELj100EENSt9enable_ifIXntsr15benchmark_utilsE35device_test_enabled_for_warp_size_vIXT1_EEEvE4typeEPKT_PT0_PS3_,comdat
.Lfunc_end61:
	.size	_Z28segmented_warp_reduce_kernelIahLj61ELj100EENSt9enable_ifIXntsr15benchmark_utilsE35device_test_enabled_for_warp_size_vIXT1_EEEvE4typeEPKT_PT0_PS3_, .Lfunc_end61-_Z28segmented_warp_reduce_kernelIahLj61ELj100EENSt9enable_ifIXntsr15benchmark_utilsE35device_test_enabled_for_warp_size_vIXT1_EEEvE4typeEPKT_PT0_PS3_
                                        ; -- End function
	.section	.AMDGPU.csdata,"",@progbits
; Kernel info:
; codeLenInByte = 4
; NumSgprs: 0
; NumVgprs: 0
; ScratchSize: 0
; MemoryBound: 0
; FloatMode: 240
; IeeeMode: 1
; LDSByteSize: 0 bytes/workgroup (compile time only)
; SGPRBlocks: 0
; VGPRBlocks: 0
; NumSGPRsForWavesPerEU: 1
; NumVGPRsForWavesPerEU: 1
; Occupancy: 16
; WaveLimiterHint : 0
; COMPUTE_PGM_RSRC2:SCRATCH_EN: 0
; COMPUTE_PGM_RSRC2:USER_SGPR: 15
; COMPUTE_PGM_RSRC2:TRAP_HANDLER: 0
; COMPUTE_PGM_RSRC2:TGID_X_EN: 1
; COMPUTE_PGM_RSRC2:TGID_Y_EN: 0
; COMPUTE_PGM_RSRC2:TGID_Z_EN: 0
; COMPUTE_PGM_RSRC2:TIDIG_COMP_CNT: 0
	.section	.text._Z28segmented_warp_reduce_kernelIahLj64ELj100EENSt9enable_ifIXntsr15benchmark_utilsE35device_test_enabled_for_warp_size_vIXT1_EEEvE4typeEPKT_PT0_PS3_,"axG",@progbits,_Z28segmented_warp_reduce_kernelIahLj64ELj100EENSt9enable_ifIXntsr15benchmark_utilsE35device_test_enabled_for_warp_size_vIXT1_EEEvE4typeEPKT_PT0_PS3_,comdat
	.protected	_Z28segmented_warp_reduce_kernelIahLj64ELj100EENSt9enable_ifIXntsr15benchmark_utilsE35device_test_enabled_for_warp_size_vIXT1_EEEvE4typeEPKT_PT0_PS3_ ; -- Begin function _Z28segmented_warp_reduce_kernelIahLj64ELj100EENSt9enable_ifIXntsr15benchmark_utilsE35device_test_enabled_for_warp_size_vIXT1_EEEvE4typeEPKT_PT0_PS3_
	.globl	_Z28segmented_warp_reduce_kernelIahLj64ELj100EENSt9enable_ifIXntsr15benchmark_utilsE35device_test_enabled_for_warp_size_vIXT1_EEEvE4typeEPKT_PT0_PS3_
	.p2align	8
	.type	_Z28segmented_warp_reduce_kernelIahLj64ELj100EENSt9enable_ifIXntsr15benchmark_utilsE35device_test_enabled_for_warp_size_vIXT1_EEEvE4typeEPKT_PT0_PS3_,@function
_Z28segmented_warp_reduce_kernelIahLj64ELj100EENSt9enable_ifIXntsr15benchmark_utilsE35device_test_enabled_for_warp_size_vIXT1_EEEvE4typeEPKT_PT0_PS3_: ; @_Z28segmented_warp_reduce_kernelIahLj64ELj100EENSt9enable_ifIXntsr15benchmark_utilsE35device_test_enabled_for_warp_size_vIXT1_EEEvE4typeEPKT_PT0_PS3_
; %bb.0:
	s_endpgm
	.section	.rodata,"a",@progbits
	.p2align	6, 0x0
	.amdhsa_kernel _Z28segmented_warp_reduce_kernelIahLj64ELj100EENSt9enable_ifIXntsr15benchmark_utilsE35device_test_enabled_for_warp_size_vIXT1_EEEvE4typeEPKT_PT0_PS3_
		.amdhsa_group_segment_fixed_size 0
		.amdhsa_private_segment_fixed_size 0
		.amdhsa_kernarg_size 24
		.amdhsa_user_sgpr_count 15
		.amdhsa_user_sgpr_dispatch_ptr 0
		.amdhsa_user_sgpr_queue_ptr 0
		.amdhsa_user_sgpr_kernarg_segment_ptr 1
		.amdhsa_user_sgpr_dispatch_id 0
		.amdhsa_user_sgpr_private_segment_size 0
		.amdhsa_wavefront_size32 1
		.amdhsa_uses_dynamic_stack 0
		.amdhsa_enable_private_segment 0
		.amdhsa_system_sgpr_workgroup_id_x 1
		.amdhsa_system_sgpr_workgroup_id_y 0
		.amdhsa_system_sgpr_workgroup_id_z 0
		.amdhsa_system_sgpr_workgroup_info 0
		.amdhsa_system_vgpr_workitem_id 0
		.amdhsa_next_free_vgpr 1
		.amdhsa_next_free_sgpr 1
		.amdhsa_reserve_vcc 0
		.amdhsa_float_round_mode_32 0
		.amdhsa_float_round_mode_16_64 0
		.amdhsa_float_denorm_mode_32 3
		.amdhsa_float_denorm_mode_16_64 3
		.amdhsa_dx10_clamp 1
		.amdhsa_ieee_mode 1
		.amdhsa_fp16_overflow 0
		.amdhsa_workgroup_processor_mode 1
		.amdhsa_memory_ordered 1
		.amdhsa_forward_progress 0
		.amdhsa_shared_vgpr_count 0
		.amdhsa_exception_fp_ieee_invalid_op 0
		.amdhsa_exception_fp_denorm_src 0
		.amdhsa_exception_fp_ieee_div_zero 0
		.amdhsa_exception_fp_ieee_overflow 0
		.amdhsa_exception_fp_ieee_underflow 0
		.amdhsa_exception_fp_ieee_inexact 0
		.amdhsa_exception_int_div_zero 0
	.end_amdhsa_kernel
	.section	.text._Z28segmented_warp_reduce_kernelIahLj64ELj100EENSt9enable_ifIXntsr15benchmark_utilsE35device_test_enabled_for_warp_size_vIXT1_EEEvE4typeEPKT_PT0_PS3_,"axG",@progbits,_Z28segmented_warp_reduce_kernelIahLj64ELj100EENSt9enable_ifIXntsr15benchmark_utilsE35device_test_enabled_for_warp_size_vIXT1_EEEvE4typeEPKT_PT0_PS3_,comdat
.Lfunc_end62:
	.size	_Z28segmented_warp_reduce_kernelIahLj64ELj100EENSt9enable_ifIXntsr15benchmark_utilsE35device_test_enabled_for_warp_size_vIXT1_EEEvE4typeEPKT_PT0_PS3_, .Lfunc_end62-_Z28segmented_warp_reduce_kernelIahLj64ELj100EENSt9enable_ifIXntsr15benchmark_utilsE35device_test_enabled_for_warp_size_vIXT1_EEEvE4typeEPKT_PT0_PS3_
                                        ; -- End function
	.section	.AMDGPU.csdata,"",@progbits
; Kernel info:
; codeLenInByte = 4
; NumSgprs: 0
; NumVgprs: 0
; ScratchSize: 0
; MemoryBound: 0
; FloatMode: 240
; IeeeMode: 1
; LDSByteSize: 0 bytes/workgroup (compile time only)
; SGPRBlocks: 0
; VGPRBlocks: 0
; NumSGPRsForWavesPerEU: 1
; NumVGPRsForWavesPerEU: 1
; Occupancy: 16
; WaveLimiterHint : 0
; COMPUTE_PGM_RSRC2:SCRATCH_EN: 0
; COMPUTE_PGM_RSRC2:USER_SGPR: 15
; COMPUTE_PGM_RSRC2:TRAP_HANDLER: 0
; COMPUTE_PGM_RSRC2:TGID_X_EN: 1
; COMPUTE_PGM_RSRC2:TGID_Y_EN: 0
; COMPUTE_PGM_RSRC2:TGID_Z_EN: 0
; COMPUTE_PGM_RSRC2:TIDIG_COMP_CNT: 0
	.section	.text._Z28segmented_warp_reduce_kernelIhhLj15ELj100EENSt9enable_ifIXsr15benchmark_utilsE35device_test_enabled_for_warp_size_vIXT1_EEEvE4typeEPKT_PT0_PS3_,"axG",@progbits,_Z28segmented_warp_reduce_kernelIhhLj15ELj100EENSt9enable_ifIXsr15benchmark_utilsE35device_test_enabled_for_warp_size_vIXT1_EEEvE4typeEPKT_PT0_PS3_,comdat
	.protected	_Z28segmented_warp_reduce_kernelIhhLj15ELj100EENSt9enable_ifIXsr15benchmark_utilsE35device_test_enabled_for_warp_size_vIXT1_EEEvE4typeEPKT_PT0_PS3_ ; -- Begin function _Z28segmented_warp_reduce_kernelIhhLj15ELj100EENSt9enable_ifIXsr15benchmark_utilsE35device_test_enabled_for_warp_size_vIXT1_EEEvE4typeEPKT_PT0_PS3_
	.globl	_Z28segmented_warp_reduce_kernelIhhLj15ELj100EENSt9enable_ifIXsr15benchmark_utilsE35device_test_enabled_for_warp_size_vIXT1_EEEvE4typeEPKT_PT0_PS3_
	.p2align	8
	.type	_Z28segmented_warp_reduce_kernelIhhLj15ELj100EENSt9enable_ifIXsr15benchmark_utilsE35device_test_enabled_for_warp_size_vIXT1_EEEvE4typeEPKT_PT0_PS3_,@function
_Z28segmented_warp_reduce_kernelIhhLj15ELj100EENSt9enable_ifIXsr15benchmark_utilsE35device_test_enabled_for_warp_size_vIXT1_EEEvE4typeEPKT_PT0_PS3_: ; @_Z28segmented_warp_reduce_kernelIhhLj15ELj100EENSt9enable_ifIXsr15benchmark_utilsE35device_test_enabled_for_warp_size_vIXT1_EEEvE4typeEPKT_PT0_PS3_
; %bb.0:
	s_clause 0x1
	s_load_b32 s2, s[0:1], 0x24
	s_load_b128 s[4:7], s[0:1], 0x0
	v_mbcnt_lo_u32_b32 v4, -1, 0
	s_load_b64 s[0:1], s[0:1], 0x10
	s_waitcnt lgkmcnt(0)
	s_and_b32 s2, s2, 0xffff
	s_delay_alu instid0(SALU_CYCLE_1)
	v_mad_u64_u32 v[1:2], null, s15, s2, v[0:1]
	v_mul_hi_u32 v2, 0x11111112, v4
	s_movk_i32 s2, 0x64
	s_clause 0x1
	global_load_u8 v8, v1, s[6:7]
	global_load_u8 v0, v1, s[4:5]
	v_mul_u32_u24_e32 v2, 15, v2
	s_delay_alu instid0(VALU_DEP_1) | instskip(SKIP_1) | instid1(VALU_DEP_2)
	v_sub_nc_u32_e32 v3, v4, v2
	v_lshlrev_b32_e64 v4, v4, -1
	v_add_nc_u32_e32 v5, 2, v3
	v_add_nc_u32_e32 v6, 4, v3
	;; [unrolled: 1-line block ×3, first 2 shown]
	s_waitcnt vmcnt(1)
	v_cmp_ne_u16_e32 vcc_lo, 0, v8
	v_cndmask_b32_e64 v8, 0, 1, vcc_lo
	s_branch .LBB63_2
.LBB63_1:                               ;   in Loop: Header=BB63_2 Depth=1
	s_or_b32 exec_lo, exec_lo, s3
	s_add_i32 s2, s2, -1
	s_delay_alu instid0(SALU_CYCLE_1)
	s_cmp_eq_u32 s2, 0
	; wave barrier
	s_cbranch_scc1 .LBB63_10
.LBB63_2:                               ; =>This Inner Loop Header: Depth=1
	s_delay_alu instid0(VALU_DEP_1) | instskip(SKIP_3) | instid1(SALU_CYCLE_1)
	v_cmp_ne_u32_e32 vcc_lo, 0, v8
	s_waitcnt vmcnt(0)
	ds_store_b8 v3, v0
	; wave barrier
	s_lshr_b32 s3, vcc_lo, 1
	v_and_b32_e32 v9, s3, v4
	s_mov_b32 s3, exec_lo
	s_delay_alu instid0(VALU_DEP_1) | instskip(NEXT) | instid1(VALU_DEP_1)
	v_lshrrev_b32_e32 v9, v2, v9
	v_or_b32_e32 v9, 0x4000, v9
	s_delay_alu instid0(VALU_DEP_1) | instskip(NEXT) | instid1(VALU_DEP_1)
	v_ctz_i32_b32_e32 v9, v9
	v_cmpx_lt_u32_e64 v3, v9
	s_cbranch_execz .LBB63_4
; %bb.3:                                ;   in Loop: Header=BB63_2 Depth=1
	ds_load_u8 v10, v3 offset:1
	s_waitcnt lgkmcnt(0)
	v_add_nc_u16 v0, v10, v0
.LBB63_4:                               ;   in Loop: Header=BB63_2 Depth=1
	s_or_b32 exec_lo, exec_lo, s3
	s_delay_alu instid0(SALU_CYCLE_1)
	s_mov_b32 s3, exec_lo
	; wave barrier
	ds_store_b8 v3, v0
	; wave barrier
	v_cmpx_le_u32_e64 v5, v9
	s_cbranch_execz .LBB63_6
; %bb.5:                                ;   in Loop: Header=BB63_2 Depth=1
	ds_load_u8 v10, v3 offset:2
	s_waitcnt lgkmcnt(0)
	v_add_nc_u16 v0, v10, v0
.LBB63_6:                               ;   in Loop: Header=BB63_2 Depth=1
	s_or_b32 exec_lo, exec_lo, s3
	s_delay_alu instid0(SALU_CYCLE_1)
	s_mov_b32 s3, exec_lo
	; wave barrier
	ds_store_b8 v3, v0
	; wave barrier
	v_cmpx_le_u32_e64 v6, v9
	;; [unrolled: 13-line block ×3, first 2 shown]
	s_cbranch_execz .LBB63_1
; %bb.9:                                ;   in Loop: Header=BB63_2 Depth=1
	ds_load_u8 v9, v3 offset:8
	s_waitcnt lgkmcnt(0)
	v_add_nc_u16 v0, v9, v0
	s_branch .LBB63_1
.LBB63_10:
	v_add_co_u32 v1, s0, s0, v1
	s_delay_alu instid0(VALU_DEP_1)
	v_add_co_ci_u32_e64 v2, null, s1, 0, s0
	global_store_b8 v[1:2], v0, off
	s_nop 0
	s_sendmsg sendmsg(MSG_DEALLOC_VGPRS)
	s_endpgm
	.section	.rodata,"a",@progbits
	.p2align	6, 0x0
	.amdhsa_kernel _Z28segmented_warp_reduce_kernelIhhLj15ELj100EENSt9enable_ifIXsr15benchmark_utilsE35device_test_enabled_for_warp_size_vIXT1_EEEvE4typeEPKT_PT0_PS3_
		.amdhsa_group_segment_fixed_size 15
		.amdhsa_private_segment_fixed_size 0
		.amdhsa_kernarg_size 280
		.amdhsa_user_sgpr_count 15
		.amdhsa_user_sgpr_dispatch_ptr 0
		.amdhsa_user_sgpr_queue_ptr 0
		.amdhsa_user_sgpr_kernarg_segment_ptr 1
		.amdhsa_user_sgpr_dispatch_id 0
		.amdhsa_user_sgpr_private_segment_size 0
		.amdhsa_wavefront_size32 1
		.amdhsa_uses_dynamic_stack 0
		.amdhsa_enable_private_segment 0
		.amdhsa_system_sgpr_workgroup_id_x 1
		.amdhsa_system_sgpr_workgroup_id_y 0
		.amdhsa_system_sgpr_workgroup_id_z 0
		.amdhsa_system_sgpr_workgroup_info 0
		.amdhsa_system_vgpr_workitem_id 0
		.amdhsa_next_free_vgpr 11
		.amdhsa_next_free_sgpr 16
		.amdhsa_reserve_vcc 1
		.amdhsa_float_round_mode_32 0
		.amdhsa_float_round_mode_16_64 0
		.amdhsa_float_denorm_mode_32 3
		.amdhsa_float_denorm_mode_16_64 3
		.amdhsa_dx10_clamp 1
		.amdhsa_ieee_mode 1
		.amdhsa_fp16_overflow 0
		.amdhsa_workgroup_processor_mode 1
		.amdhsa_memory_ordered 1
		.amdhsa_forward_progress 0
		.amdhsa_shared_vgpr_count 0
		.amdhsa_exception_fp_ieee_invalid_op 0
		.amdhsa_exception_fp_denorm_src 0
		.amdhsa_exception_fp_ieee_div_zero 0
		.amdhsa_exception_fp_ieee_overflow 0
		.amdhsa_exception_fp_ieee_underflow 0
		.amdhsa_exception_fp_ieee_inexact 0
		.amdhsa_exception_int_div_zero 0
	.end_amdhsa_kernel
	.section	.text._Z28segmented_warp_reduce_kernelIhhLj15ELj100EENSt9enable_ifIXsr15benchmark_utilsE35device_test_enabled_for_warp_size_vIXT1_EEEvE4typeEPKT_PT0_PS3_,"axG",@progbits,_Z28segmented_warp_reduce_kernelIhhLj15ELj100EENSt9enable_ifIXsr15benchmark_utilsE35device_test_enabled_for_warp_size_vIXT1_EEEvE4typeEPKT_PT0_PS3_,comdat
.Lfunc_end63:
	.size	_Z28segmented_warp_reduce_kernelIhhLj15ELj100EENSt9enable_ifIXsr15benchmark_utilsE35device_test_enabled_for_warp_size_vIXT1_EEEvE4typeEPKT_PT0_PS3_, .Lfunc_end63-_Z28segmented_warp_reduce_kernelIhhLj15ELj100EENSt9enable_ifIXsr15benchmark_utilsE35device_test_enabled_for_warp_size_vIXT1_EEEvE4typeEPKT_PT0_PS3_
                                        ; -- End function
	.section	.AMDGPU.csdata,"",@progbits
; Kernel info:
; codeLenInByte = 456
; NumSgprs: 18
; NumVgprs: 11
; ScratchSize: 0
; MemoryBound: 0
; FloatMode: 240
; IeeeMode: 1
; LDSByteSize: 15 bytes/workgroup (compile time only)
; SGPRBlocks: 2
; VGPRBlocks: 1
; NumSGPRsForWavesPerEU: 18
; NumVGPRsForWavesPerEU: 11
; Occupancy: 16
; WaveLimiterHint : 0
; COMPUTE_PGM_RSRC2:SCRATCH_EN: 0
; COMPUTE_PGM_RSRC2:USER_SGPR: 15
; COMPUTE_PGM_RSRC2:TRAP_HANDLER: 0
; COMPUTE_PGM_RSRC2:TGID_X_EN: 1
; COMPUTE_PGM_RSRC2:TGID_Y_EN: 0
; COMPUTE_PGM_RSRC2:TGID_Z_EN: 0
; COMPUTE_PGM_RSRC2:TIDIG_COMP_CNT: 0
	.section	.text._Z28segmented_warp_reduce_kernelIhhLj16ELj100EENSt9enable_ifIXsr15benchmark_utilsE35device_test_enabled_for_warp_size_vIXT1_EEEvE4typeEPKT_PT0_PS3_,"axG",@progbits,_Z28segmented_warp_reduce_kernelIhhLj16ELj100EENSt9enable_ifIXsr15benchmark_utilsE35device_test_enabled_for_warp_size_vIXT1_EEEvE4typeEPKT_PT0_PS3_,comdat
	.protected	_Z28segmented_warp_reduce_kernelIhhLj16ELj100EENSt9enable_ifIXsr15benchmark_utilsE35device_test_enabled_for_warp_size_vIXT1_EEEvE4typeEPKT_PT0_PS3_ ; -- Begin function _Z28segmented_warp_reduce_kernelIhhLj16ELj100EENSt9enable_ifIXsr15benchmark_utilsE35device_test_enabled_for_warp_size_vIXT1_EEEvE4typeEPKT_PT0_PS3_
	.globl	_Z28segmented_warp_reduce_kernelIhhLj16ELj100EENSt9enable_ifIXsr15benchmark_utilsE35device_test_enabled_for_warp_size_vIXT1_EEEvE4typeEPKT_PT0_PS3_
	.p2align	8
	.type	_Z28segmented_warp_reduce_kernelIhhLj16ELj100EENSt9enable_ifIXsr15benchmark_utilsE35device_test_enabled_for_warp_size_vIXT1_EEEvE4typeEPKT_PT0_PS3_,@function
_Z28segmented_warp_reduce_kernelIhhLj16ELj100EENSt9enable_ifIXsr15benchmark_utilsE35device_test_enabled_for_warp_size_vIXT1_EEEvE4typeEPKT_PT0_PS3_: ; @_Z28segmented_warp_reduce_kernelIhhLj16ELj100EENSt9enable_ifIXsr15benchmark_utilsE35device_test_enabled_for_warp_size_vIXT1_EEEvE4typeEPKT_PT0_PS3_
; %bb.0:
	s_clause 0x1
	s_load_b32 s2, s[0:1], 0x24
	s_load_b128 s[8:11], s[0:1], 0x0
	v_mbcnt_lo_u32_b32 v5, -1, 0
	s_load_b64 s[4:5], s[0:1], 0x10
	s_movk_i32 s3, 0x64
	s_delay_alu instid0(VALU_DEP_1) | instskip(SKIP_1) | instid1(VALU_DEP_2)
	v_and_b32_e32 v6, 15, v5
	v_and_b32_e32 v3, 16, v5
	v_add_nc_u32_e32 v7, 2, v6
	v_add_nc_u32_e32 v9, 4, v6
	;; [unrolled: 1-line block ×3, first 2 shown]
	s_waitcnt lgkmcnt(0)
	s_and_b32 s2, s2, 0xffff
	s_delay_alu instid0(SALU_CYCLE_1)
	v_mad_u64_u32 v[1:2], null, s15, s2, v[0:1]
	s_clause 0x1
	global_load_u8 v2, v1, s[10:11]
	global_load_u8 v0, v1, s[8:9]
	s_waitcnt vmcnt(1)
	v_cmp_ne_u16_e32 vcc_lo, 0, v2
	v_cndmask_b32_e64 v2, 0, 1, vcc_lo
	s_delay_alu instid0(VALU_DEP_1) | instskip(SKIP_3) | instid1(VALU_DEP_2)
	v_cmp_ne_u32_e32 vcc_lo, 0, v2
	v_lshlrev_b32_e64 v2, v5, -1
	s_lshr_b32 s0, vcc_lo, 1
	v_cmp_ne_u32_e32 vcc_lo, 15, v6
	v_and_b32_e32 v2, s0, v2
	v_add_co_ci_u32_e32 v4, vcc_lo, 0, v5, vcc_lo
	v_cmp_gt_u32_e32 vcc_lo, 14, v6
	s_delay_alu instid0(VALU_DEP_3) | instskip(SKIP_2) | instid1(VALU_DEP_3)
	v_lshrrev_b32_e32 v2, v3, v2
	v_cndmask_b32_e64 v8, 0, 1, vcc_lo
	v_cmp_gt_u32_e32 vcc_lo, 12, v6
	v_or_b32_e32 v2, 0x8000, v2
	s_delay_alu instid0(VALU_DEP_3) | instskip(SKIP_2) | instid1(VALU_DEP_4)
	v_lshlrev_b32_e32 v8, 1, v8
	v_cndmask_b32_e64 v3, 0, 1, vcc_lo
	v_cmp_gt_u32_e32 vcc_lo, 8, v6
	v_ctz_i32_b32_e32 v13, v2
	v_lshlrev_b32_e32 v2, 2, v4
	s_delay_alu instid0(VALU_DEP_4)
	v_lshlrev_b32_e32 v12, 2, v3
	v_cndmask_b32_e64 v10, 0, 1, vcc_lo
	v_add_lshl_u32 v3, v8, v5, 2
	v_cmp_lt_u32_e32 vcc_lo, v6, v13
	v_cmp_gt_u32_e64 s0, v7, v13
	v_add_lshl_u32 v4, v12, v5, 2
	v_lshlrev_b32_e32 v10, 3, v10
	v_cmp_gt_u32_e64 s1, v9, v13
	v_cmp_le_u32_e64 s2, v11, v13
	s_delay_alu instid0(VALU_DEP_3)
	v_add_lshl_u32 v5, v10, v5, 2
	s_set_inst_prefetch_distance 0x1
	.p2align	6
.LBB64_1:                               ; =>This Inner Loop Header: Depth=1
	s_waitcnt vmcnt(0)
	s_delay_alu instid0(VALU_DEP_1) | instskip(SKIP_1) | instid1(SALU_CYCLE_1)
	v_and_b32_e32 v6, 0xff, v0
	s_add_i32 s3, s3, -1
	s_cmp_eq_u32 s3, 0
	ds_bpermute_b32 v7, v2, v6
	s_waitcnt lgkmcnt(0)
	v_add_nc_u16 v7, v0, v7
	s_delay_alu instid0(VALU_DEP_1) | instskip(NEXT) | instid1(VALU_DEP_1)
	v_and_b32_e32 v8, 0xff, v7
	v_dual_cndmask_b32 v7, v0, v7 :: v_dual_cndmask_b32 v6, v6, v8
	ds_bpermute_b32 v8, v3, v6
	s_waitcnt lgkmcnt(0)
	v_add_nc_u16 v8, v7, v8
	s_delay_alu instid0(VALU_DEP_1) | instskip(SKIP_1) | instid1(VALU_DEP_2)
	v_and_b32_e32 v9, 0xff, v8
	v_cndmask_b32_e64 v7, v8, v7, s0
	v_cndmask_b32_e64 v6, v9, v6, s0
	ds_bpermute_b32 v9, v4, v6
	s_waitcnt lgkmcnt(0)
	v_add_nc_u16 v8, v7, v9
	s_delay_alu instid0(VALU_DEP_1) | instskip(SKIP_1) | instid1(VALU_DEP_2)
	v_and_b32_e32 v9, 0xff, v8
	v_cndmask_b32_e64 v7, v8, v7, s1
	v_cndmask_b32_e64 v6, v9, v6, s1
	ds_bpermute_b32 v6, v5, v6
	s_waitcnt lgkmcnt(0)
	v_cndmask_b32_e64 v6, 0, v6, s2
	s_delay_alu instid0(VALU_DEP_1) | instskip(NEXT) | instid1(VALU_DEP_1)
	v_add_nc_u16 v6, v7, v6
	v_cndmask_b32_e32 v0, v0, v6, vcc_lo
	s_cbranch_scc0 .LBB64_1
; %bb.2:
	s_set_inst_prefetch_distance 0x2
	v_add_co_u32 v1, s0, s4, v1
	s_delay_alu instid0(VALU_DEP_1)
	v_add_co_ci_u32_e64 v2, null, s5, 0, s0
	global_store_b8 v[1:2], v0, off
	s_nop 0
	s_sendmsg sendmsg(MSG_DEALLOC_VGPRS)
	s_endpgm
	.section	.rodata,"a",@progbits
	.p2align	6, 0x0
	.amdhsa_kernel _Z28segmented_warp_reduce_kernelIhhLj16ELj100EENSt9enable_ifIXsr15benchmark_utilsE35device_test_enabled_for_warp_size_vIXT1_EEEvE4typeEPKT_PT0_PS3_
		.amdhsa_group_segment_fixed_size 0
		.amdhsa_private_segment_fixed_size 0
		.amdhsa_kernarg_size 280
		.amdhsa_user_sgpr_count 15
		.amdhsa_user_sgpr_dispatch_ptr 0
		.amdhsa_user_sgpr_queue_ptr 0
		.amdhsa_user_sgpr_kernarg_segment_ptr 1
		.amdhsa_user_sgpr_dispatch_id 0
		.amdhsa_user_sgpr_private_segment_size 0
		.amdhsa_wavefront_size32 1
		.amdhsa_uses_dynamic_stack 0
		.amdhsa_enable_private_segment 0
		.amdhsa_system_sgpr_workgroup_id_x 1
		.amdhsa_system_sgpr_workgroup_id_y 0
		.amdhsa_system_sgpr_workgroup_id_z 0
		.amdhsa_system_sgpr_workgroup_info 0
		.amdhsa_system_vgpr_workitem_id 0
		.amdhsa_next_free_vgpr 14
		.amdhsa_next_free_sgpr 16
		.amdhsa_reserve_vcc 1
		.amdhsa_float_round_mode_32 0
		.amdhsa_float_round_mode_16_64 0
		.amdhsa_float_denorm_mode_32 3
		.amdhsa_float_denorm_mode_16_64 3
		.amdhsa_dx10_clamp 1
		.amdhsa_ieee_mode 1
		.amdhsa_fp16_overflow 0
		.amdhsa_workgroup_processor_mode 1
		.amdhsa_memory_ordered 1
		.amdhsa_forward_progress 0
		.amdhsa_shared_vgpr_count 0
		.amdhsa_exception_fp_ieee_invalid_op 0
		.amdhsa_exception_fp_denorm_src 0
		.amdhsa_exception_fp_ieee_div_zero 0
		.amdhsa_exception_fp_ieee_overflow 0
		.amdhsa_exception_fp_ieee_underflow 0
		.amdhsa_exception_fp_ieee_inexact 0
		.amdhsa_exception_int_div_zero 0
	.end_amdhsa_kernel
	.section	.text._Z28segmented_warp_reduce_kernelIhhLj16ELj100EENSt9enable_ifIXsr15benchmark_utilsE35device_test_enabled_for_warp_size_vIXT1_EEEvE4typeEPKT_PT0_PS3_,"axG",@progbits,_Z28segmented_warp_reduce_kernelIhhLj16ELj100EENSt9enable_ifIXsr15benchmark_utilsE35device_test_enabled_for_warp_size_vIXT1_EEEvE4typeEPKT_PT0_PS3_,comdat
.Lfunc_end64:
	.size	_Z28segmented_warp_reduce_kernelIhhLj16ELj100EENSt9enable_ifIXsr15benchmark_utilsE35device_test_enabled_for_warp_size_vIXT1_EEEvE4typeEPKT_PT0_PS3_, .Lfunc_end64-_Z28segmented_warp_reduce_kernelIhhLj16ELj100EENSt9enable_ifIXsr15benchmark_utilsE35device_test_enabled_for_warp_size_vIXT1_EEEvE4typeEPKT_PT0_PS3_
                                        ; -- End function
	.section	.AMDGPU.csdata,"",@progbits
; Kernel info:
; codeLenInByte = 540
; NumSgprs: 18
; NumVgprs: 14
; ScratchSize: 0
; MemoryBound: 0
; FloatMode: 240
; IeeeMode: 1
; LDSByteSize: 0 bytes/workgroup (compile time only)
; SGPRBlocks: 2
; VGPRBlocks: 1
; NumSGPRsForWavesPerEU: 18
; NumVGPRsForWavesPerEU: 14
; Occupancy: 16
; WaveLimiterHint : 0
; COMPUTE_PGM_RSRC2:SCRATCH_EN: 0
; COMPUTE_PGM_RSRC2:USER_SGPR: 15
; COMPUTE_PGM_RSRC2:TRAP_HANDLER: 0
; COMPUTE_PGM_RSRC2:TGID_X_EN: 1
; COMPUTE_PGM_RSRC2:TGID_Y_EN: 0
; COMPUTE_PGM_RSRC2:TGID_Z_EN: 0
; COMPUTE_PGM_RSRC2:TIDIG_COMP_CNT: 0
	.section	.text._Z28segmented_warp_reduce_kernelIhhLj31ELj100EENSt9enable_ifIXsr15benchmark_utilsE35device_test_enabled_for_warp_size_vIXT1_EEEvE4typeEPKT_PT0_PS3_,"axG",@progbits,_Z28segmented_warp_reduce_kernelIhhLj31ELj100EENSt9enable_ifIXsr15benchmark_utilsE35device_test_enabled_for_warp_size_vIXT1_EEEvE4typeEPKT_PT0_PS3_,comdat
	.protected	_Z28segmented_warp_reduce_kernelIhhLj31ELj100EENSt9enable_ifIXsr15benchmark_utilsE35device_test_enabled_for_warp_size_vIXT1_EEEvE4typeEPKT_PT0_PS3_ ; -- Begin function _Z28segmented_warp_reduce_kernelIhhLj31ELj100EENSt9enable_ifIXsr15benchmark_utilsE35device_test_enabled_for_warp_size_vIXT1_EEEvE4typeEPKT_PT0_PS3_
	.globl	_Z28segmented_warp_reduce_kernelIhhLj31ELj100EENSt9enable_ifIXsr15benchmark_utilsE35device_test_enabled_for_warp_size_vIXT1_EEEvE4typeEPKT_PT0_PS3_
	.p2align	8
	.type	_Z28segmented_warp_reduce_kernelIhhLj31ELj100EENSt9enable_ifIXsr15benchmark_utilsE35device_test_enabled_for_warp_size_vIXT1_EEEvE4typeEPKT_PT0_PS3_,@function
_Z28segmented_warp_reduce_kernelIhhLj31ELj100EENSt9enable_ifIXsr15benchmark_utilsE35device_test_enabled_for_warp_size_vIXT1_EEEvE4typeEPKT_PT0_PS3_: ; @_Z28segmented_warp_reduce_kernelIhhLj31ELj100EENSt9enable_ifIXsr15benchmark_utilsE35device_test_enabled_for_warp_size_vIXT1_EEEvE4typeEPKT_PT0_PS3_
; %bb.0:
	s_clause 0x1
	s_load_b32 s2, s[0:1], 0x24
	s_load_b128 s[4:7], s[0:1], 0x0
	v_mbcnt_lo_u32_b32 v4, -1, 0
	s_load_b64 s[0:1], s[0:1], 0x10
	s_waitcnt lgkmcnt(0)
	s_and_b32 s2, s2, 0xffff
	s_delay_alu instid0(SALU_CYCLE_1)
	v_mad_u64_u32 v[1:2], null, s15, s2, v[0:1]
	v_mul_hi_u32 v2, 0x8421085, v4
	s_movk_i32 s2, 0x64
	s_clause 0x1
	global_load_u8 v9, v1, s[6:7]
	global_load_u8 v0, v1, s[4:5]
	v_mul_u32_u24_e32 v2, 31, v2
	s_delay_alu instid0(VALU_DEP_1) | instskip(SKIP_1) | instid1(VALU_DEP_2)
	v_sub_nc_u32_e32 v3, v4, v2
	v_lshlrev_b32_e64 v4, v4, -1
	v_add_nc_u32_e32 v5, 2, v3
	v_add_nc_u32_e32 v6, 4, v3
	;; [unrolled: 1-line block ×4, first 2 shown]
	s_waitcnt vmcnt(1)
	v_cmp_ne_u16_e32 vcc_lo, 0, v9
	v_cndmask_b32_e64 v9, 0, 1, vcc_lo
	s_branch .LBB65_2
.LBB65_1:                               ;   in Loop: Header=BB65_2 Depth=1
	s_or_b32 exec_lo, exec_lo, s3
	s_add_i32 s2, s2, -1
	s_delay_alu instid0(SALU_CYCLE_1)
	s_cmp_eq_u32 s2, 0
	; wave barrier
	s_cbranch_scc1 .LBB65_12
.LBB65_2:                               ; =>This Inner Loop Header: Depth=1
	s_delay_alu instid0(VALU_DEP_1) | instskip(SKIP_3) | instid1(SALU_CYCLE_1)
	v_cmp_ne_u32_e32 vcc_lo, 0, v9
	s_waitcnt vmcnt(0)
	ds_store_b8 v3, v0
	; wave barrier
	s_lshr_b32 s3, vcc_lo, 1
	v_and_b32_e32 v10, s3, v4
	s_mov_b32 s3, exec_lo
	s_delay_alu instid0(VALU_DEP_1) | instskip(NEXT) | instid1(VALU_DEP_1)
	v_lshrrev_b32_e32 v10, v2, v10
	v_or_b32_e32 v10, 2.0, v10
	s_delay_alu instid0(VALU_DEP_1) | instskip(NEXT) | instid1(VALU_DEP_1)
	v_ctz_i32_b32_e32 v10, v10
	v_cmpx_lt_u32_e64 v3, v10
	s_cbranch_execz .LBB65_4
; %bb.3:                                ;   in Loop: Header=BB65_2 Depth=1
	ds_load_u8 v11, v3 offset:1
	s_waitcnt lgkmcnt(0)
	v_add_nc_u16 v0, v11, v0
.LBB65_4:                               ;   in Loop: Header=BB65_2 Depth=1
	s_or_b32 exec_lo, exec_lo, s3
	s_delay_alu instid0(SALU_CYCLE_1)
	s_mov_b32 s3, exec_lo
	; wave barrier
	ds_store_b8 v3, v0
	; wave barrier
	v_cmpx_le_u32_e64 v5, v10
	s_cbranch_execz .LBB65_6
; %bb.5:                                ;   in Loop: Header=BB65_2 Depth=1
	ds_load_u8 v11, v3 offset:2
	s_waitcnt lgkmcnt(0)
	v_add_nc_u16 v0, v11, v0
.LBB65_6:                               ;   in Loop: Header=BB65_2 Depth=1
	s_or_b32 exec_lo, exec_lo, s3
	s_delay_alu instid0(SALU_CYCLE_1)
	s_mov_b32 s3, exec_lo
	; wave barrier
	ds_store_b8 v3, v0
	; wave barrier
	v_cmpx_le_u32_e64 v6, v10
	;; [unrolled: 13-line block ×3, first 2 shown]
	s_cbranch_execz .LBB65_10
; %bb.9:                                ;   in Loop: Header=BB65_2 Depth=1
	ds_load_u8 v11, v3 offset:8
	s_waitcnt lgkmcnt(0)
	v_add_nc_u16 v0, v11, v0
.LBB65_10:                              ;   in Loop: Header=BB65_2 Depth=1
	s_or_b32 exec_lo, exec_lo, s3
	s_delay_alu instid0(SALU_CYCLE_1)
	s_mov_b32 s3, exec_lo
	; wave barrier
	ds_store_b8 v3, v0
	; wave barrier
	v_cmpx_le_u32_e64 v8, v10
	s_cbranch_execz .LBB65_1
; %bb.11:                               ;   in Loop: Header=BB65_2 Depth=1
	ds_load_u8 v10, v3 offset:16
	s_waitcnt lgkmcnt(0)
	v_add_nc_u16 v0, v10, v0
	s_branch .LBB65_1
.LBB65_12:
	v_add_co_u32 v1, s0, s0, v1
	s_delay_alu instid0(VALU_DEP_1)
	v_add_co_ci_u32_e64 v2, null, s1, 0, s0
	global_store_b8 v[1:2], v0, off
	s_nop 0
	s_sendmsg sendmsg(MSG_DEALLOC_VGPRS)
	s_endpgm
	.section	.rodata,"a",@progbits
	.p2align	6, 0x0
	.amdhsa_kernel _Z28segmented_warp_reduce_kernelIhhLj31ELj100EENSt9enable_ifIXsr15benchmark_utilsE35device_test_enabled_for_warp_size_vIXT1_EEEvE4typeEPKT_PT0_PS3_
		.amdhsa_group_segment_fixed_size 31
		.amdhsa_private_segment_fixed_size 0
		.amdhsa_kernarg_size 280
		.amdhsa_user_sgpr_count 15
		.amdhsa_user_sgpr_dispatch_ptr 0
		.amdhsa_user_sgpr_queue_ptr 0
		.amdhsa_user_sgpr_kernarg_segment_ptr 1
		.amdhsa_user_sgpr_dispatch_id 0
		.amdhsa_user_sgpr_private_segment_size 0
		.amdhsa_wavefront_size32 1
		.amdhsa_uses_dynamic_stack 0
		.amdhsa_enable_private_segment 0
		.amdhsa_system_sgpr_workgroup_id_x 1
		.amdhsa_system_sgpr_workgroup_id_y 0
		.amdhsa_system_sgpr_workgroup_id_z 0
		.amdhsa_system_sgpr_workgroup_info 0
		.amdhsa_system_vgpr_workitem_id 0
		.amdhsa_next_free_vgpr 12
		.amdhsa_next_free_sgpr 16
		.amdhsa_reserve_vcc 1
		.amdhsa_float_round_mode_32 0
		.amdhsa_float_round_mode_16_64 0
		.amdhsa_float_denorm_mode_32 3
		.amdhsa_float_denorm_mode_16_64 3
		.amdhsa_dx10_clamp 1
		.amdhsa_ieee_mode 1
		.amdhsa_fp16_overflow 0
		.amdhsa_workgroup_processor_mode 1
		.amdhsa_memory_ordered 1
		.amdhsa_forward_progress 0
		.amdhsa_shared_vgpr_count 0
		.amdhsa_exception_fp_ieee_invalid_op 0
		.amdhsa_exception_fp_denorm_src 0
		.amdhsa_exception_fp_ieee_div_zero 0
		.amdhsa_exception_fp_ieee_overflow 0
		.amdhsa_exception_fp_ieee_underflow 0
		.amdhsa_exception_fp_ieee_inexact 0
		.amdhsa_exception_int_div_zero 0
	.end_amdhsa_kernel
	.section	.text._Z28segmented_warp_reduce_kernelIhhLj31ELj100EENSt9enable_ifIXsr15benchmark_utilsE35device_test_enabled_for_warp_size_vIXT1_EEEvE4typeEPKT_PT0_PS3_,"axG",@progbits,_Z28segmented_warp_reduce_kernelIhhLj31ELj100EENSt9enable_ifIXsr15benchmark_utilsE35device_test_enabled_for_warp_size_vIXT1_EEEvE4typeEPKT_PT0_PS3_,comdat
.Lfunc_end65:
	.size	_Z28segmented_warp_reduce_kernelIhhLj31ELj100EENSt9enable_ifIXsr15benchmark_utilsE35device_test_enabled_for_warp_size_vIXT1_EEEvE4typeEPKT_PT0_PS3_, .Lfunc_end65-_Z28segmented_warp_reduce_kernelIhhLj31ELj100EENSt9enable_ifIXsr15benchmark_utilsE35device_test_enabled_for_warp_size_vIXT1_EEEvE4typeEPKT_PT0_PS3_
                                        ; -- End function
	.section	.AMDGPU.csdata,"",@progbits
; Kernel info:
; codeLenInByte = 508
; NumSgprs: 18
; NumVgprs: 12
; ScratchSize: 0
; MemoryBound: 0
; FloatMode: 240
; IeeeMode: 1
; LDSByteSize: 31 bytes/workgroup (compile time only)
; SGPRBlocks: 2
; VGPRBlocks: 1
; NumSGPRsForWavesPerEU: 18
; NumVGPRsForWavesPerEU: 12
; Occupancy: 16
; WaveLimiterHint : 0
; COMPUTE_PGM_RSRC2:SCRATCH_EN: 0
; COMPUTE_PGM_RSRC2:USER_SGPR: 15
; COMPUTE_PGM_RSRC2:TRAP_HANDLER: 0
; COMPUTE_PGM_RSRC2:TGID_X_EN: 1
; COMPUTE_PGM_RSRC2:TGID_Y_EN: 0
; COMPUTE_PGM_RSRC2:TGID_Z_EN: 0
; COMPUTE_PGM_RSRC2:TIDIG_COMP_CNT: 0
	.section	.text._Z28segmented_warp_reduce_kernelIhhLj32ELj100EENSt9enable_ifIXsr15benchmark_utilsE35device_test_enabled_for_warp_size_vIXT1_EEEvE4typeEPKT_PT0_PS3_,"axG",@progbits,_Z28segmented_warp_reduce_kernelIhhLj32ELj100EENSt9enable_ifIXsr15benchmark_utilsE35device_test_enabled_for_warp_size_vIXT1_EEEvE4typeEPKT_PT0_PS3_,comdat
	.protected	_Z28segmented_warp_reduce_kernelIhhLj32ELj100EENSt9enable_ifIXsr15benchmark_utilsE35device_test_enabled_for_warp_size_vIXT1_EEEvE4typeEPKT_PT0_PS3_ ; -- Begin function _Z28segmented_warp_reduce_kernelIhhLj32ELj100EENSt9enable_ifIXsr15benchmark_utilsE35device_test_enabled_for_warp_size_vIXT1_EEEvE4typeEPKT_PT0_PS3_
	.globl	_Z28segmented_warp_reduce_kernelIhhLj32ELj100EENSt9enable_ifIXsr15benchmark_utilsE35device_test_enabled_for_warp_size_vIXT1_EEEvE4typeEPKT_PT0_PS3_
	.p2align	8
	.type	_Z28segmented_warp_reduce_kernelIhhLj32ELj100EENSt9enable_ifIXsr15benchmark_utilsE35device_test_enabled_for_warp_size_vIXT1_EEEvE4typeEPKT_PT0_PS3_,@function
_Z28segmented_warp_reduce_kernelIhhLj32ELj100EENSt9enable_ifIXsr15benchmark_utilsE35device_test_enabled_for_warp_size_vIXT1_EEEvE4typeEPKT_PT0_PS3_: ; @_Z28segmented_warp_reduce_kernelIhhLj32ELj100EENSt9enable_ifIXsr15benchmark_utilsE35device_test_enabled_for_warp_size_vIXT1_EEEvE4typeEPKT_PT0_PS3_
; %bb.0:
	s_clause 0x1
	s_load_b32 s2, s[0:1], 0x24
	s_load_b128 s[8:11], s[0:1], 0x0
	v_mbcnt_lo_u32_b32 v6, -1, 0
	s_load_b64 s[6:7], s[0:1], 0x10
	s_movk_i32 s5, 0x64
	s_delay_alu instid0(VALU_DEP_1)
	v_cmp_ne_u32_e32 vcc_lo, 31, v6
	v_cmp_gt_u32_e64 s0, 28, v6
	v_lshlrev_b32_e64 v3, v6, -1
	v_add_nc_u32_e32 v7, 1, v6
	v_add_nc_u32_e32 v8, 2, v6
	v_add_co_ci_u32_e32 v4, vcc_lo, 0, v6, vcc_lo
	v_add_nc_u32_e32 v9, 4, v6
	v_add_nc_u32_e32 v11, 8, v6
	s_waitcnt lgkmcnt(0)
	s_and_b32 s2, s2, 0xffff
	s_delay_alu instid0(SALU_CYCLE_1)
	v_mad_u64_u32 v[1:2], null, s15, s2, v[0:1]
	s_clause 0x1
	global_load_u8 v2, v1, s[10:11]
	global_load_u8 v0, v1, s[8:9]
	s_waitcnt vmcnt(1)
	v_cmp_ne_u16_e32 vcc_lo, 0, v2
	v_cndmask_b32_e64 v2, 0, 1, vcc_lo
	v_cmp_gt_u32_e32 vcc_lo, 30, v6
	v_cndmask_b32_e64 v5, 0, 1, vcc_lo
	s_delay_alu instid0(VALU_DEP_3) | instskip(SKIP_2) | instid1(VALU_DEP_4)
	v_cmp_ne_u32_e32 vcc_lo, 0, v2
	v_cndmask_b32_e64 v2, 0, 1, s0
	v_cmp_gt_u32_e64 s0, 24, v6
	v_lshlrev_b32_e32 v5, 1, v5
	s_delay_alu instid0(VALU_DEP_3) | instskip(NEXT) | instid1(VALU_DEP_3)
	v_lshlrev_b32_e32 v13, 2, v2
	v_cndmask_b32_e64 v10, 0, 1, s0
	s_lshr_b32 s0, vcc_lo, 1
	v_cmp_gt_u32_e32 vcc_lo, 16, v6
	v_and_or_b32 v3, v3, s0, 0x80000000
	v_lshlrev_b32_e32 v2, 2, v4
	v_lshlrev_b32_e32 v10, 3, v10
	v_add_lshl_u32 v4, v13, v6, 2
	v_cndmask_b32_e64 v12, 0, 1, vcc_lo
	v_ctz_i32_b32_e32 v14, v3
	v_add_lshl_u32 v3, v5, v6, 2
	v_add_lshl_u32 v5, v10, v6, 2
	s_delay_alu instid0(VALU_DEP_3)
	v_cmp_le_u32_e32 vcc_lo, v7, v14
	v_cmp_le_u32_e64 s0, v8, v14
	v_add_nc_u32_e32 v7, 16, v6
	v_cmp_le_u32_e64 s1, v9, v14
	v_lshlrev_b32_e32 v8, 4, v12
	v_cmp_le_u32_e64 s2, v11, v14
	s_or_b32 s4, vcc_lo, s0
	v_cmp_le_u32_e64 s3, v7, v14
	s_or_b32 s4, s1, s4
	v_add_lshl_u32 v6, v8, v6, 2
	s_or_b32 s4, s2, s4
	s_delay_alu instid0(VALU_DEP_2) | instid1(SALU_CYCLE_1)
	s_or_b32 s4, s3, s4
.LBB66_1:                               ; =>This Inner Loop Header: Depth=1
	s_waitcnt vmcnt(0)
	s_delay_alu instid0(VALU_DEP_1) | instskip(SKIP_1) | instid1(SALU_CYCLE_1)
	v_and_b32_e32 v7, 0xff, v0
	s_add_i32 s5, s5, -1
	s_cmp_eq_u32 s5, 0
	ds_bpermute_b32 v8, v2, v7
	s_waitcnt lgkmcnt(0)
	v_add_nc_u16 v8, v0, v8
	s_delay_alu instid0(VALU_DEP_1) | instskip(NEXT) | instid1(VALU_DEP_1)
	v_and_b32_e32 v9, 0xff, v8
	v_dual_cndmask_b32 v8, v0, v8 :: v_dual_cndmask_b32 v7, v7, v9
	ds_bpermute_b32 v9, v3, v7
	s_waitcnt lgkmcnt(0)
	v_add_nc_u16 v9, v8, v9
	s_delay_alu instid0(VALU_DEP_1) | instskip(SKIP_1) | instid1(VALU_DEP_2)
	v_and_b32_e32 v10, 0xff, v9
	v_cndmask_b32_e64 v8, v8, v9, s0
	v_cndmask_b32_e64 v7, v7, v10, s0
	ds_bpermute_b32 v10, v4, v7
	s_waitcnt lgkmcnt(0)
	v_add_nc_u16 v9, v8, v10
	s_delay_alu instid0(VALU_DEP_1) | instskip(SKIP_1) | instid1(VALU_DEP_2)
	v_and_b32_e32 v10, 0xff, v9
	v_cndmask_b32_e64 v8, v8, v9, s1
	v_cndmask_b32_e64 v7, v7, v10, s1
	;; [unrolled: 7-line block ×3, first 2 shown]
	ds_bpermute_b32 v7, v6, v7
	s_waitcnt lgkmcnt(0)
	v_cndmask_b32_e64 v7, 0, v7, s3
	s_delay_alu instid0(VALU_DEP_1) | instskip(NEXT) | instid1(VALU_DEP_1)
	v_add_nc_u16 v7, v8, v7
	v_cndmask_b32_e64 v0, v0, v7, s4
	s_cbranch_scc0 .LBB66_1
; %bb.2:
	v_add_co_u32 v1, s0, s6, v1
	s_delay_alu instid0(VALU_DEP_1)
	v_add_co_ci_u32_e64 v2, null, s7, 0, s0
	global_store_b8 v[1:2], v0, off
	s_nop 0
	s_sendmsg sendmsg(MSG_DEALLOC_VGPRS)
	s_endpgm
	.section	.rodata,"a",@progbits
	.p2align	6, 0x0
	.amdhsa_kernel _Z28segmented_warp_reduce_kernelIhhLj32ELj100EENSt9enable_ifIXsr15benchmark_utilsE35device_test_enabled_for_warp_size_vIXT1_EEEvE4typeEPKT_PT0_PS3_
		.amdhsa_group_segment_fixed_size 0
		.amdhsa_private_segment_fixed_size 0
		.amdhsa_kernarg_size 280
		.amdhsa_user_sgpr_count 15
		.amdhsa_user_sgpr_dispatch_ptr 0
		.amdhsa_user_sgpr_queue_ptr 0
		.amdhsa_user_sgpr_kernarg_segment_ptr 1
		.amdhsa_user_sgpr_dispatch_id 0
		.amdhsa_user_sgpr_private_segment_size 0
		.amdhsa_wavefront_size32 1
		.amdhsa_uses_dynamic_stack 0
		.amdhsa_enable_private_segment 0
		.amdhsa_system_sgpr_workgroup_id_x 1
		.amdhsa_system_sgpr_workgroup_id_y 0
		.amdhsa_system_sgpr_workgroup_id_z 0
		.amdhsa_system_sgpr_workgroup_info 0
		.amdhsa_system_vgpr_workitem_id 0
		.amdhsa_next_free_vgpr 15
		.amdhsa_next_free_sgpr 16
		.amdhsa_reserve_vcc 1
		.amdhsa_float_round_mode_32 0
		.amdhsa_float_round_mode_16_64 0
		.amdhsa_float_denorm_mode_32 3
		.amdhsa_float_denorm_mode_16_64 3
		.amdhsa_dx10_clamp 1
		.amdhsa_ieee_mode 1
		.amdhsa_fp16_overflow 0
		.amdhsa_workgroup_processor_mode 1
		.amdhsa_memory_ordered 1
		.amdhsa_forward_progress 0
		.amdhsa_shared_vgpr_count 0
		.amdhsa_exception_fp_ieee_invalid_op 0
		.amdhsa_exception_fp_denorm_src 0
		.amdhsa_exception_fp_ieee_div_zero 0
		.amdhsa_exception_fp_ieee_overflow 0
		.amdhsa_exception_fp_ieee_underflow 0
		.amdhsa_exception_fp_ieee_inexact 0
		.amdhsa_exception_int_div_zero 0
	.end_amdhsa_kernel
	.section	.text._Z28segmented_warp_reduce_kernelIhhLj32ELj100EENSt9enable_ifIXsr15benchmark_utilsE35device_test_enabled_for_warp_size_vIXT1_EEEvE4typeEPKT_PT0_PS3_,"axG",@progbits,_Z28segmented_warp_reduce_kernelIhhLj32ELj100EENSt9enable_ifIXsr15benchmark_utilsE35device_test_enabled_for_warp_size_vIXT1_EEEvE4typeEPKT_PT0_PS3_,comdat
.Lfunc_end66:
	.size	_Z28segmented_warp_reduce_kernelIhhLj32ELj100EENSt9enable_ifIXsr15benchmark_utilsE35device_test_enabled_for_warp_size_vIXT1_EEEvE4typeEPKT_PT0_PS3_, .Lfunc_end66-_Z28segmented_warp_reduce_kernelIhhLj32ELj100EENSt9enable_ifIXsr15benchmark_utilsE35device_test_enabled_for_warp_size_vIXT1_EEEvE4typeEPKT_PT0_PS3_
                                        ; -- End function
	.section	.AMDGPU.csdata,"",@progbits
; Kernel info:
; codeLenInByte = 632
; NumSgprs: 18
; NumVgprs: 15
; ScratchSize: 0
; MemoryBound: 0
; FloatMode: 240
; IeeeMode: 1
; LDSByteSize: 0 bytes/workgroup (compile time only)
; SGPRBlocks: 2
; VGPRBlocks: 1
; NumSGPRsForWavesPerEU: 18
; NumVGPRsForWavesPerEU: 15
; Occupancy: 16
; WaveLimiterHint : 0
; COMPUTE_PGM_RSRC2:SCRATCH_EN: 0
; COMPUTE_PGM_RSRC2:USER_SGPR: 15
; COMPUTE_PGM_RSRC2:TRAP_HANDLER: 0
; COMPUTE_PGM_RSRC2:TGID_X_EN: 1
; COMPUTE_PGM_RSRC2:TGID_Y_EN: 0
; COMPUTE_PGM_RSRC2:TGID_Z_EN: 0
; COMPUTE_PGM_RSRC2:TIDIG_COMP_CNT: 0
	.section	.text._Z28segmented_warp_reduce_kernelIhhLj37ELj100EENSt9enable_ifIXntsr15benchmark_utilsE35device_test_enabled_for_warp_size_vIXT1_EEEvE4typeEPKT_PT0_PS3_,"axG",@progbits,_Z28segmented_warp_reduce_kernelIhhLj37ELj100EENSt9enable_ifIXntsr15benchmark_utilsE35device_test_enabled_for_warp_size_vIXT1_EEEvE4typeEPKT_PT0_PS3_,comdat
	.protected	_Z28segmented_warp_reduce_kernelIhhLj37ELj100EENSt9enable_ifIXntsr15benchmark_utilsE35device_test_enabled_for_warp_size_vIXT1_EEEvE4typeEPKT_PT0_PS3_ ; -- Begin function _Z28segmented_warp_reduce_kernelIhhLj37ELj100EENSt9enable_ifIXntsr15benchmark_utilsE35device_test_enabled_for_warp_size_vIXT1_EEEvE4typeEPKT_PT0_PS3_
	.globl	_Z28segmented_warp_reduce_kernelIhhLj37ELj100EENSt9enable_ifIXntsr15benchmark_utilsE35device_test_enabled_for_warp_size_vIXT1_EEEvE4typeEPKT_PT0_PS3_
	.p2align	8
	.type	_Z28segmented_warp_reduce_kernelIhhLj37ELj100EENSt9enable_ifIXntsr15benchmark_utilsE35device_test_enabled_for_warp_size_vIXT1_EEEvE4typeEPKT_PT0_PS3_,@function
_Z28segmented_warp_reduce_kernelIhhLj37ELj100EENSt9enable_ifIXntsr15benchmark_utilsE35device_test_enabled_for_warp_size_vIXT1_EEEvE4typeEPKT_PT0_PS3_: ; @_Z28segmented_warp_reduce_kernelIhhLj37ELj100EENSt9enable_ifIXntsr15benchmark_utilsE35device_test_enabled_for_warp_size_vIXT1_EEEvE4typeEPKT_PT0_PS3_
; %bb.0:
	s_endpgm
	.section	.rodata,"a",@progbits
	.p2align	6, 0x0
	.amdhsa_kernel _Z28segmented_warp_reduce_kernelIhhLj37ELj100EENSt9enable_ifIXntsr15benchmark_utilsE35device_test_enabled_for_warp_size_vIXT1_EEEvE4typeEPKT_PT0_PS3_
		.amdhsa_group_segment_fixed_size 0
		.amdhsa_private_segment_fixed_size 0
		.amdhsa_kernarg_size 24
		.amdhsa_user_sgpr_count 15
		.amdhsa_user_sgpr_dispatch_ptr 0
		.amdhsa_user_sgpr_queue_ptr 0
		.amdhsa_user_sgpr_kernarg_segment_ptr 1
		.amdhsa_user_sgpr_dispatch_id 0
		.amdhsa_user_sgpr_private_segment_size 0
		.amdhsa_wavefront_size32 1
		.amdhsa_uses_dynamic_stack 0
		.amdhsa_enable_private_segment 0
		.amdhsa_system_sgpr_workgroup_id_x 1
		.amdhsa_system_sgpr_workgroup_id_y 0
		.amdhsa_system_sgpr_workgroup_id_z 0
		.amdhsa_system_sgpr_workgroup_info 0
		.amdhsa_system_vgpr_workitem_id 0
		.amdhsa_next_free_vgpr 1
		.amdhsa_next_free_sgpr 1
		.amdhsa_reserve_vcc 0
		.amdhsa_float_round_mode_32 0
		.amdhsa_float_round_mode_16_64 0
		.amdhsa_float_denorm_mode_32 3
		.amdhsa_float_denorm_mode_16_64 3
		.amdhsa_dx10_clamp 1
		.amdhsa_ieee_mode 1
		.amdhsa_fp16_overflow 0
		.amdhsa_workgroup_processor_mode 1
		.amdhsa_memory_ordered 1
		.amdhsa_forward_progress 0
		.amdhsa_shared_vgpr_count 0
		.amdhsa_exception_fp_ieee_invalid_op 0
		.amdhsa_exception_fp_denorm_src 0
		.amdhsa_exception_fp_ieee_div_zero 0
		.amdhsa_exception_fp_ieee_overflow 0
		.amdhsa_exception_fp_ieee_underflow 0
		.amdhsa_exception_fp_ieee_inexact 0
		.amdhsa_exception_int_div_zero 0
	.end_amdhsa_kernel
	.section	.text._Z28segmented_warp_reduce_kernelIhhLj37ELj100EENSt9enable_ifIXntsr15benchmark_utilsE35device_test_enabled_for_warp_size_vIXT1_EEEvE4typeEPKT_PT0_PS3_,"axG",@progbits,_Z28segmented_warp_reduce_kernelIhhLj37ELj100EENSt9enable_ifIXntsr15benchmark_utilsE35device_test_enabled_for_warp_size_vIXT1_EEEvE4typeEPKT_PT0_PS3_,comdat
.Lfunc_end67:
	.size	_Z28segmented_warp_reduce_kernelIhhLj37ELj100EENSt9enable_ifIXntsr15benchmark_utilsE35device_test_enabled_for_warp_size_vIXT1_EEEvE4typeEPKT_PT0_PS3_, .Lfunc_end67-_Z28segmented_warp_reduce_kernelIhhLj37ELj100EENSt9enable_ifIXntsr15benchmark_utilsE35device_test_enabled_for_warp_size_vIXT1_EEEvE4typeEPKT_PT0_PS3_
                                        ; -- End function
	.section	.AMDGPU.csdata,"",@progbits
; Kernel info:
; codeLenInByte = 4
; NumSgprs: 0
; NumVgprs: 0
; ScratchSize: 0
; MemoryBound: 0
; FloatMode: 240
; IeeeMode: 1
; LDSByteSize: 0 bytes/workgroup (compile time only)
; SGPRBlocks: 0
; VGPRBlocks: 0
; NumSGPRsForWavesPerEU: 1
; NumVGPRsForWavesPerEU: 1
; Occupancy: 16
; WaveLimiterHint : 0
; COMPUTE_PGM_RSRC2:SCRATCH_EN: 0
; COMPUTE_PGM_RSRC2:USER_SGPR: 15
; COMPUTE_PGM_RSRC2:TRAP_HANDLER: 0
; COMPUTE_PGM_RSRC2:TGID_X_EN: 1
; COMPUTE_PGM_RSRC2:TGID_Y_EN: 0
; COMPUTE_PGM_RSRC2:TGID_Z_EN: 0
; COMPUTE_PGM_RSRC2:TIDIG_COMP_CNT: 0
	.section	.text._Z28segmented_warp_reduce_kernelIhhLj61ELj100EENSt9enable_ifIXntsr15benchmark_utilsE35device_test_enabled_for_warp_size_vIXT1_EEEvE4typeEPKT_PT0_PS3_,"axG",@progbits,_Z28segmented_warp_reduce_kernelIhhLj61ELj100EENSt9enable_ifIXntsr15benchmark_utilsE35device_test_enabled_for_warp_size_vIXT1_EEEvE4typeEPKT_PT0_PS3_,comdat
	.protected	_Z28segmented_warp_reduce_kernelIhhLj61ELj100EENSt9enable_ifIXntsr15benchmark_utilsE35device_test_enabled_for_warp_size_vIXT1_EEEvE4typeEPKT_PT0_PS3_ ; -- Begin function _Z28segmented_warp_reduce_kernelIhhLj61ELj100EENSt9enable_ifIXntsr15benchmark_utilsE35device_test_enabled_for_warp_size_vIXT1_EEEvE4typeEPKT_PT0_PS3_
	.globl	_Z28segmented_warp_reduce_kernelIhhLj61ELj100EENSt9enable_ifIXntsr15benchmark_utilsE35device_test_enabled_for_warp_size_vIXT1_EEEvE4typeEPKT_PT0_PS3_
	.p2align	8
	.type	_Z28segmented_warp_reduce_kernelIhhLj61ELj100EENSt9enable_ifIXntsr15benchmark_utilsE35device_test_enabled_for_warp_size_vIXT1_EEEvE4typeEPKT_PT0_PS3_,@function
_Z28segmented_warp_reduce_kernelIhhLj61ELj100EENSt9enable_ifIXntsr15benchmark_utilsE35device_test_enabled_for_warp_size_vIXT1_EEEvE4typeEPKT_PT0_PS3_: ; @_Z28segmented_warp_reduce_kernelIhhLj61ELj100EENSt9enable_ifIXntsr15benchmark_utilsE35device_test_enabled_for_warp_size_vIXT1_EEEvE4typeEPKT_PT0_PS3_
; %bb.0:
	s_endpgm
	.section	.rodata,"a",@progbits
	.p2align	6, 0x0
	.amdhsa_kernel _Z28segmented_warp_reduce_kernelIhhLj61ELj100EENSt9enable_ifIXntsr15benchmark_utilsE35device_test_enabled_for_warp_size_vIXT1_EEEvE4typeEPKT_PT0_PS3_
		.amdhsa_group_segment_fixed_size 0
		.amdhsa_private_segment_fixed_size 0
		.amdhsa_kernarg_size 24
		.amdhsa_user_sgpr_count 15
		.amdhsa_user_sgpr_dispatch_ptr 0
		.amdhsa_user_sgpr_queue_ptr 0
		.amdhsa_user_sgpr_kernarg_segment_ptr 1
		.amdhsa_user_sgpr_dispatch_id 0
		.amdhsa_user_sgpr_private_segment_size 0
		.amdhsa_wavefront_size32 1
		.amdhsa_uses_dynamic_stack 0
		.amdhsa_enable_private_segment 0
		.amdhsa_system_sgpr_workgroup_id_x 1
		.amdhsa_system_sgpr_workgroup_id_y 0
		.amdhsa_system_sgpr_workgroup_id_z 0
		.amdhsa_system_sgpr_workgroup_info 0
		.amdhsa_system_vgpr_workitem_id 0
		.amdhsa_next_free_vgpr 1
		.amdhsa_next_free_sgpr 1
		.amdhsa_reserve_vcc 0
		.amdhsa_float_round_mode_32 0
		.amdhsa_float_round_mode_16_64 0
		.amdhsa_float_denorm_mode_32 3
		.amdhsa_float_denorm_mode_16_64 3
		.amdhsa_dx10_clamp 1
		.amdhsa_ieee_mode 1
		.amdhsa_fp16_overflow 0
		.amdhsa_workgroup_processor_mode 1
		.amdhsa_memory_ordered 1
		.amdhsa_forward_progress 0
		.amdhsa_shared_vgpr_count 0
		.amdhsa_exception_fp_ieee_invalid_op 0
		.amdhsa_exception_fp_denorm_src 0
		.amdhsa_exception_fp_ieee_div_zero 0
		.amdhsa_exception_fp_ieee_overflow 0
		.amdhsa_exception_fp_ieee_underflow 0
		.amdhsa_exception_fp_ieee_inexact 0
		.amdhsa_exception_int_div_zero 0
	.end_amdhsa_kernel
	.section	.text._Z28segmented_warp_reduce_kernelIhhLj61ELj100EENSt9enable_ifIXntsr15benchmark_utilsE35device_test_enabled_for_warp_size_vIXT1_EEEvE4typeEPKT_PT0_PS3_,"axG",@progbits,_Z28segmented_warp_reduce_kernelIhhLj61ELj100EENSt9enable_ifIXntsr15benchmark_utilsE35device_test_enabled_for_warp_size_vIXT1_EEEvE4typeEPKT_PT0_PS3_,comdat
.Lfunc_end68:
	.size	_Z28segmented_warp_reduce_kernelIhhLj61ELj100EENSt9enable_ifIXntsr15benchmark_utilsE35device_test_enabled_for_warp_size_vIXT1_EEEvE4typeEPKT_PT0_PS3_, .Lfunc_end68-_Z28segmented_warp_reduce_kernelIhhLj61ELj100EENSt9enable_ifIXntsr15benchmark_utilsE35device_test_enabled_for_warp_size_vIXT1_EEEvE4typeEPKT_PT0_PS3_
                                        ; -- End function
	.section	.AMDGPU.csdata,"",@progbits
; Kernel info:
; codeLenInByte = 4
; NumSgprs: 0
; NumVgprs: 0
; ScratchSize: 0
; MemoryBound: 0
; FloatMode: 240
; IeeeMode: 1
; LDSByteSize: 0 bytes/workgroup (compile time only)
; SGPRBlocks: 0
; VGPRBlocks: 0
; NumSGPRsForWavesPerEU: 1
; NumVGPRsForWavesPerEU: 1
; Occupancy: 16
; WaveLimiterHint : 0
; COMPUTE_PGM_RSRC2:SCRATCH_EN: 0
; COMPUTE_PGM_RSRC2:USER_SGPR: 15
; COMPUTE_PGM_RSRC2:TRAP_HANDLER: 0
; COMPUTE_PGM_RSRC2:TGID_X_EN: 1
; COMPUTE_PGM_RSRC2:TGID_Y_EN: 0
; COMPUTE_PGM_RSRC2:TGID_Z_EN: 0
; COMPUTE_PGM_RSRC2:TIDIG_COMP_CNT: 0
	.section	.text._Z28segmented_warp_reduce_kernelIhhLj64ELj100EENSt9enable_ifIXntsr15benchmark_utilsE35device_test_enabled_for_warp_size_vIXT1_EEEvE4typeEPKT_PT0_PS3_,"axG",@progbits,_Z28segmented_warp_reduce_kernelIhhLj64ELj100EENSt9enable_ifIXntsr15benchmark_utilsE35device_test_enabled_for_warp_size_vIXT1_EEEvE4typeEPKT_PT0_PS3_,comdat
	.protected	_Z28segmented_warp_reduce_kernelIhhLj64ELj100EENSt9enable_ifIXntsr15benchmark_utilsE35device_test_enabled_for_warp_size_vIXT1_EEEvE4typeEPKT_PT0_PS3_ ; -- Begin function _Z28segmented_warp_reduce_kernelIhhLj64ELj100EENSt9enable_ifIXntsr15benchmark_utilsE35device_test_enabled_for_warp_size_vIXT1_EEEvE4typeEPKT_PT0_PS3_
	.globl	_Z28segmented_warp_reduce_kernelIhhLj64ELj100EENSt9enable_ifIXntsr15benchmark_utilsE35device_test_enabled_for_warp_size_vIXT1_EEEvE4typeEPKT_PT0_PS3_
	.p2align	8
	.type	_Z28segmented_warp_reduce_kernelIhhLj64ELj100EENSt9enable_ifIXntsr15benchmark_utilsE35device_test_enabled_for_warp_size_vIXT1_EEEvE4typeEPKT_PT0_PS3_,@function
_Z28segmented_warp_reduce_kernelIhhLj64ELj100EENSt9enable_ifIXntsr15benchmark_utilsE35device_test_enabled_for_warp_size_vIXT1_EEEvE4typeEPKT_PT0_PS3_: ; @_Z28segmented_warp_reduce_kernelIhhLj64ELj100EENSt9enable_ifIXntsr15benchmark_utilsE35device_test_enabled_for_warp_size_vIXT1_EEEvE4typeEPKT_PT0_PS3_
; %bb.0:
	s_endpgm
	.section	.rodata,"a",@progbits
	.p2align	6, 0x0
	.amdhsa_kernel _Z28segmented_warp_reduce_kernelIhhLj64ELj100EENSt9enable_ifIXntsr15benchmark_utilsE35device_test_enabled_for_warp_size_vIXT1_EEEvE4typeEPKT_PT0_PS3_
		.amdhsa_group_segment_fixed_size 0
		.amdhsa_private_segment_fixed_size 0
		.amdhsa_kernarg_size 24
		.amdhsa_user_sgpr_count 15
		.amdhsa_user_sgpr_dispatch_ptr 0
		.amdhsa_user_sgpr_queue_ptr 0
		.amdhsa_user_sgpr_kernarg_segment_ptr 1
		.amdhsa_user_sgpr_dispatch_id 0
		.amdhsa_user_sgpr_private_segment_size 0
		.amdhsa_wavefront_size32 1
		.amdhsa_uses_dynamic_stack 0
		.amdhsa_enable_private_segment 0
		.amdhsa_system_sgpr_workgroup_id_x 1
		.amdhsa_system_sgpr_workgroup_id_y 0
		.amdhsa_system_sgpr_workgroup_id_z 0
		.amdhsa_system_sgpr_workgroup_info 0
		.amdhsa_system_vgpr_workitem_id 0
		.amdhsa_next_free_vgpr 1
		.amdhsa_next_free_sgpr 1
		.amdhsa_reserve_vcc 0
		.amdhsa_float_round_mode_32 0
		.amdhsa_float_round_mode_16_64 0
		.amdhsa_float_denorm_mode_32 3
		.amdhsa_float_denorm_mode_16_64 3
		.amdhsa_dx10_clamp 1
		.amdhsa_ieee_mode 1
		.amdhsa_fp16_overflow 0
		.amdhsa_workgroup_processor_mode 1
		.amdhsa_memory_ordered 1
		.amdhsa_forward_progress 0
		.amdhsa_shared_vgpr_count 0
		.amdhsa_exception_fp_ieee_invalid_op 0
		.amdhsa_exception_fp_denorm_src 0
		.amdhsa_exception_fp_ieee_div_zero 0
		.amdhsa_exception_fp_ieee_overflow 0
		.amdhsa_exception_fp_ieee_underflow 0
		.amdhsa_exception_fp_ieee_inexact 0
		.amdhsa_exception_int_div_zero 0
	.end_amdhsa_kernel
	.section	.text._Z28segmented_warp_reduce_kernelIhhLj64ELj100EENSt9enable_ifIXntsr15benchmark_utilsE35device_test_enabled_for_warp_size_vIXT1_EEEvE4typeEPKT_PT0_PS3_,"axG",@progbits,_Z28segmented_warp_reduce_kernelIhhLj64ELj100EENSt9enable_ifIXntsr15benchmark_utilsE35device_test_enabled_for_warp_size_vIXT1_EEEvE4typeEPKT_PT0_PS3_,comdat
.Lfunc_end69:
	.size	_Z28segmented_warp_reduce_kernelIhhLj64ELj100EENSt9enable_ifIXntsr15benchmark_utilsE35device_test_enabled_for_warp_size_vIXT1_EEEvE4typeEPKT_PT0_PS3_, .Lfunc_end69-_Z28segmented_warp_reduce_kernelIhhLj64ELj100EENSt9enable_ifIXntsr15benchmark_utilsE35device_test_enabled_for_warp_size_vIXT1_EEEvE4typeEPKT_PT0_PS3_
                                        ; -- End function
	.section	.AMDGPU.csdata,"",@progbits
; Kernel info:
; codeLenInByte = 4
; NumSgprs: 0
; NumVgprs: 0
; ScratchSize: 0
; MemoryBound: 0
; FloatMode: 240
; IeeeMode: 1
; LDSByteSize: 0 bytes/workgroup (compile time only)
; SGPRBlocks: 0
; VGPRBlocks: 0
; NumSGPRsForWavesPerEU: 1
; NumVGPRsForWavesPerEU: 1
; Occupancy: 16
; WaveLimiterHint : 0
; COMPUTE_PGM_RSRC2:SCRATCH_EN: 0
; COMPUTE_PGM_RSRC2:USER_SGPR: 15
; COMPUTE_PGM_RSRC2:TRAP_HANDLER: 0
; COMPUTE_PGM_RSRC2:TGID_X_EN: 1
; COMPUTE_PGM_RSRC2:TGID_Y_EN: 0
; COMPUTE_PGM_RSRC2:TGID_Z_EN: 0
; COMPUTE_PGM_RSRC2:TIDIG_COMP_CNT: 0
	.text
	.p2alignl 7, 3214868480
	.fill 96, 4, 3214868480
	.type	__hip_cuid_bbdad7eb490b2e7,@object ; @__hip_cuid_bbdad7eb490b2e7
	.section	.bss,"aw",@nobits
	.globl	__hip_cuid_bbdad7eb490b2e7
__hip_cuid_bbdad7eb490b2e7:
	.byte	0                               ; 0x0
	.size	__hip_cuid_bbdad7eb490b2e7, 1

	.ident	"AMD clang version 19.0.0git (https://github.com/RadeonOpenCompute/llvm-project roc-6.4.0 25133 c7fe45cf4b819c5991fe208aaa96edf142730f1d)"
	.section	".note.GNU-stack","",@progbits
	.addrsig
	.addrsig_sym __hip_cuid_bbdad7eb490b2e7
	.amdgpu_metadata
---
amdhsa.kernels:
  - .args:
      - .address_space:  global
        .offset:         0
        .size:           8
        .value_kind:     global_buffer
      - .address_space:  global
        .offset:         8
        .size:           8
        .value_kind:     global_buffer
      - .offset:         16
        .size:           4
        .value_kind:     hidden_block_count_x
      - .offset:         20
        .size:           4
        .value_kind:     hidden_block_count_y
      - .offset:         24
        .size:           4
        .value_kind:     hidden_block_count_z
      - .offset:         28
        .size:           2
        .value_kind:     hidden_group_size_x
      - .offset:         30
        .size:           2
        .value_kind:     hidden_group_size_y
      - .offset:         32
        .size:           2
        .value_kind:     hidden_group_size_z
      - .offset:         34
        .size:           2
        .value_kind:     hidden_remainder_x
      - .offset:         36
        .size:           2
        .value_kind:     hidden_remainder_y
      - .offset:         38
        .size:           2
        .value_kind:     hidden_remainder_z
      - .offset:         56
        .size:           8
        .value_kind:     hidden_global_offset_x
      - .offset:         64
        .size:           8
        .value_kind:     hidden_global_offset_y
      - .offset:         72
        .size:           8
        .value_kind:     hidden_global_offset_z
      - .offset:         80
        .size:           2
        .value_kind:     hidden_grid_dims
    .group_segment_fixed_size: 60
    .kernarg_segment_align: 8
    .kernarg_segment_size: 272
    .language:       OpenCL C
    .language_version:
      - 2
      - 0
    .max_flat_workgroup_size: 64
    .name:           _Z18warp_reduce_kernelIiLj15ELj100EENSt9enable_ifIXsr15benchmark_utilsE35device_test_enabled_for_warp_size_vIXT0_EEEvE4typeEPKT_PS3_
    .private_segment_fixed_size: 0
    .sgpr_count:     18
    .sgpr_spill_count: 0
    .symbol:         _Z18warp_reduce_kernelIiLj15ELj100EENSt9enable_ifIXsr15benchmark_utilsE35device_test_enabled_for_warp_size_vIXT0_EEEvE4typeEPKT_PS3_.kd
    .uniform_work_group_size: 1
    .uses_dynamic_stack: false
    .vgpr_count:     7
    .vgpr_spill_count: 0
    .wavefront_size: 32
    .workgroup_processor_mode: 1
  - .args:
      - .address_space:  global
        .offset:         0
        .size:           8
        .value_kind:     global_buffer
      - .address_space:  global
        .offset:         8
        .size:           8
        .value_kind:     global_buffer
      - .offset:         16
        .size:           4
        .value_kind:     hidden_block_count_x
      - .offset:         20
        .size:           4
        .value_kind:     hidden_block_count_y
      - .offset:         24
        .size:           4
        .value_kind:     hidden_block_count_z
      - .offset:         28
        .size:           2
        .value_kind:     hidden_group_size_x
      - .offset:         30
        .size:           2
        .value_kind:     hidden_group_size_y
      - .offset:         32
        .size:           2
        .value_kind:     hidden_group_size_z
      - .offset:         34
        .size:           2
        .value_kind:     hidden_remainder_x
      - .offset:         36
        .size:           2
        .value_kind:     hidden_remainder_y
      - .offset:         38
        .size:           2
        .value_kind:     hidden_remainder_z
      - .offset:         56
        .size:           8
        .value_kind:     hidden_global_offset_x
      - .offset:         64
        .size:           8
        .value_kind:     hidden_global_offset_y
      - .offset:         72
        .size:           8
        .value_kind:     hidden_global_offset_z
      - .offset:         80
        .size:           2
        .value_kind:     hidden_grid_dims
    .group_segment_fixed_size: 0
    .kernarg_segment_align: 8
    .kernarg_segment_size: 272
    .language:       OpenCL C
    .language_version:
      - 2
      - 0
    .max_flat_workgroup_size: 64
    .name:           _Z18warp_reduce_kernelIiLj16ELj100EENSt9enable_ifIXsr15benchmark_utilsE35device_test_enabled_for_warp_size_vIXT0_EEEvE4typeEPKT_PS3_
    .private_segment_fixed_size: 0
    .sgpr_count:     18
    .sgpr_spill_count: 0
    .symbol:         _Z18warp_reduce_kernelIiLj16ELj100EENSt9enable_ifIXsr15benchmark_utilsE35device_test_enabled_for_warp_size_vIXT0_EEEvE4typeEPKT_PS3_.kd
    .uniform_work_group_size: 1
    .uses_dynamic_stack: false
    .vgpr_count:     8
    .vgpr_spill_count: 0
    .wavefront_size: 32
    .workgroup_processor_mode: 1
  - .args:
      - .address_space:  global
        .offset:         0
        .size:           8
        .value_kind:     global_buffer
      - .address_space:  global
        .offset:         8
        .size:           8
        .value_kind:     global_buffer
      - .offset:         16
        .size:           4
        .value_kind:     hidden_block_count_x
      - .offset:         20
        .size:           4
        .value_kind:     hidden_block_count_y
      - .offset:         24
        .size:           4
        .value_kind:     hidden_block_count_z
      - .offset:         28
        .size:           2
        .value_kind:     hidden_group_size_x
      - .offset:         30
        .size:           2
        .value_kind:     hidden_group_size_y
      - .offset:         32
        .size:           2
        .value_kind:     hidden_group_size_z
      - .offset:         34
        .size:           2
        .value_kind:     hidden_remainder_x
      - .offset:         36
        .size:           2
        .value_kind:     hidden_remainder_y
      - .offset:         38
        .size:           2
        .value_kind:     hidden_remainder_z
      - .offset:         56
        .size:           8
        .value_kind:     hidden_global_offset_x
      - .offset:         64
        .size:           8
        .value_kind:     hidden_global_offset_y
      - .offset:         72
        .size:           8
        .value_kind:     hidden_global_offset_z
      - .offset:         80
        .size:           2
        .value_kind:     hidden_grid_dims
    .group_segment_fixed_size: 124
    .kernarg_segment_align: 8
    .kernarg_segment_size: 272
    .language:       OpenCL C
    .language_version:
      - 2
      - 0
    .max_flat_workgroup_size: 64
    .name:           _Z18warp_reduce_kernelIiLj31ELj100EENSt9enable_ifIXsr15benchmark_utilsE35device_test_enabled_for_warp_size_vIXT0_EEEvE4typeEPKT_PS3_
    .private_segment_fixed_size: 0
    .sgpr_count:     18
    .sgpr_spill_count: 0
    .symbol:         _Z18warp_reduce_kernelIiLj31ELj100EENSt9enable_ifIXsr15benchmark_utilsE35device_test_enabled_for_warp_size_vIXT0_EEEvE4typeEPKT_PS3_.kd
    .uniform_work_group_size: 1
    .uses_dynamic_stack: false
    .vgpr_count:     6
    .vgpr_spill_count: 0
    .wavefront_size: 32
    .workgroup_processor_mode: 1
  - .args:
      - .address_space:  global
        .offset:         0
        .size:           8
        .value_kind:     global_buffer
      - .address_space:  global
        .offset:         8
        .size:           8
        .value_kind:     global_buffer
      - .offset:         16
        .size:           4
        .value_kind:     hidden_block_count_x
      - .offset:         20
        .size:           4
        .value_kind:     hidden_block_count_y
      - .offset:         24
        .size:           4
        .value_kind:     hidden_block_count_z
      - .offset:         28
        .size:           2
        .value_kind:     hidden_group_size_x
      - .offset:         30
        .size:           2
        .value_kind:     hidden_group_size_y
      - .offset:         32
        .size:           2
        .value_kind:     hidden_group_size_z
      - .offset:         34
        .size:           2
        .value_kind:     hidden_remainder_x
      - .offset:         36
        .size:           2
        .value_kind:     hidden_remainder_y
      - .offset:         38
        .size:           2
        .value_kind:     hidden_remainder_z
      - .offset:         56
        .size:           8
        .value_kind:     hidden_global_offset_x
      - .offset:         64
        .size:           8
        .value_kind:     hidden_global_offset_y
      - .offset:         72
        .size:           8
        .value_kind:     hidden_global_offset_z
      - .offset:         80
        .size:           2
        .value_kind:     hidden_grid_dims
    .group_segment_fixed_size: 0
    .kernarg_segment_align: 8
    .kernarg_segment_size: 272
    .language:       OpenCL C
    .language_version:
      - 2
      - 0
    .max_flat_workgroup_size: 64
    .name:           _Z18warp_reduce_kernelIiLj32ELj100EENSt9enable_ifIXsr15benchmark_utilsE35device_test_enabled_for_warp_size_vIXT0_EEEvE4typeEPKT_PS3_
    .private_segment_fixed_size: 0
    .sgpr_count:     18
    .sgpr_spill_count: 0
    .symbol:         _Z18warp_reduce_kernelIiLj32ELj100EENSt9enable_ifIXsr15benchmark_utilsE35device_test_enabled_for_warp_size_vIXT0_EEEvE4typeEPKT_PS3_.kd
    .uniform_work_group_size: 1
    .uses_dynamic_stack: false
    .vgpr_count:     5
    .vgpr_spill_count: 0
    .wavefront_size: 32
    .workgroup_processor_mode: 1
  - .args:
      - .address_space:  global
        .offset:         0
        .size:           8
        .value_kind:     global_buffer
      - .address_space:  global
        .offset:         8
        .size:           8
        .value_kind:     global_buffer
    .group_segment_fixed_size: 0
    .kernarg_segment_align: 8
    .kernarg_segment_size: 16
    .language:       OpenCL C
    .language_version:
      - 2
      - 0
    .max_flat_workgroup_size: 64
    .name:           _Z18warp_reduce_kernelIiLj37ELj100EENSt9enable_ifIXntsr15benchmark_utilsE35device_test_enabled_for_warp_size_vIXT0_EEEvE4typeEPKT_PS3_
    .private_segment_fixed_size: 0
    .sgpr_count:     0
    .sgpr_spill_count: 0
    .symbol:         _Z18warp_reduce_kernelIiLj37ELj100EENSt9enable_ifIXntsr15benchmark_utilsE35device_test_enabled_for_warp_size_vIXT0_EEEvE4typeEPKT_PS3_.kd
    .uniform_work_group_size: 1
    .uses_dynamic_stack: false
    .vgpr_count:     0
    .vgpr_spill_count: 0
    .wavefront_size: 32
    .workgroup_processor_mode: 1
  - .args:
      - .address_space:  global
        .offset:         0
        .size:           8
        .value_kind:     global_buffer
      - .address_space:  global
        .offset:         8
        .size:           8
        .value_kind:     global_buffer
    .group_segment_fixed_size: 0
    .kernarg_segment_align: 8
    .kernarg_segment_size: 16
    .language:       OpenCL C
    .language_version:
      - 2
      - 0
    .max_flat_workgroup_size: 64
    .name:           _Z18warp_reduce_kernelIiLj61ELj100EENSt9enable_ifIXntsr15benchmark_utilsE35device_test_enabled_for_warp_size_vIXT0_EEEvE4typeEPKT_PS3_
    .private_segment_fixed_size: 0
    .sgpr_count:     0
    .sgpr_spill_count: 0
    .symbol:         _Z18warp_reduce_kernelIiLj61ELj100EENSt9enable_ifIXntsr15benchmark_utilsE35device_test_enabled_for_warp_size_vIXT0_EEEvE4typeEPKT_PS3_.kd
    .uniform_work_group_size: 1
    .uses_dynamic_stack: false
    .vgpr_count:     0
    .vgpr_spill_count: 0
    .wavefront_size: 32
    .workgroup_processor_mode: 1
  - .args:
      - .address_space:  global
        .offset:         0
        .size:           8
        .value_kind:     global_buffer
      - .address_space:  global
        .offset:         8
        .size:           8
        .value_kind:     global_buffer
    .group_segment_fixed_size: 0
    .kernarg_segment_align: 8
    .kernarg_segment_size: 16
    .language:       OpenCL C
    .language_version:
      - 2
      - 0
    .max_flat_workgroup_size: 64
    .name:           _Z18warp_reduce_kernelIiLj64ELj100EENSt9enable_ifIXntsr15benchmark_utilsE35device_test_enabled_for_warp_size_vIXT0_EEEvE4typeEPKT_PS3_
    .private_segment_fixed_size: 0
    .sgpr_count:     0
    .sgpr_spill_count: 0
    .symbol:         _Z18warp_reduce_kernelIiLj64ELj100EENSt9enable_ifIXntsr15benchmark_utilsE35device_test_enabled_for_warp_size_vIXT0_EEEvE4typeEPKT_PS3_.kd
    .uniform_work_group_size: 1
    .uses_dynamic_stack: false
    .vgpr_count:     0
    .vgpr_spill_count: 0
    .wavefront_size: 32
    .workgroup_processor_mode: 1
  - .args:
      - .address_space:  global
        .offset:         0
        .size:           8
        .value_kind:     global_buffer
      - .address_space:  global
        .offset:         8
        .size:           8
        .value_kind:     global_buffer
      - .offset:         16
        .size:           4
        .value_kind:     hidden_block_count_x
      - .offset:         20
        .size:           4
        .value_kind:     hidden_block_count_y
      - .offset:         24
        .size:           4
        .value_kind:     hidden_block_count_z
      - .offset:         28
        .size:           2
        .value_kind:     hidden_group_size_x
      - .offset:         30
        .size:           2
        .value_kind:     hidden_group_size_y
      - .offset:         32
        .size:           2
        .value_kind:     hidden_group_size_z
      - .offset:         34
        .size:           2
        .value_kind:     hidden_remainder_x
      - .offset:         36
        .size:           2
        .value_kind:     hidden_remainder_y
      - .offset:         38
        .size:           2
        .value_kind:     hidden_remainder_z
      - .offset:         56
        .size:           8
        .value_kind:     hidden_global_offset_x
      - .offset:         64
        .size:           8
        .value_kind:     hidden_global_offset_y
      - .offset:         72
        .size:           8
        .value_kind:     hidden_global_offset_z
      - .offset:         80
        .size:           2
        .value_kind:     hidden_grid_dims
    .group_segment_fixed_size: 60
    .kernarg_segment_align: 8
    .kernarg_segment_size: 272
    .language:       OpenCL C
    .language_version:
      - 2
      - 0
    .max_flat_workgroup_size: 64
    .name:           _Z18warp_reduce_kernelIfLj15ELj100EENSt9enable_ifIXsr15benchmark_utilsE35device_test_enabled_for_warp_size_vIXT0_EEEvE4typeEPKT_PS3_
    .private_segment_fixed_size: 0
    .sgpr_count:     18
    .sgpr_spill_count: 0
    .symbol:         _Z18warp_reduce_kernelIfLj15ELj100EENSt9enable_ifIXsr15benchmark_utilsE35device_test_enabled_for_warp_size_vIXT0_EEEvE4typeEPKT_PS3_.kd
    .uniform_work_group_size: 1
    .uses_dynamic_stack: false
    .vgpr_count:     7
    .vgpr_spill_count: 0
    .wavefront_size: 32
    .workgroup_processor_mode: 1
  - .args:
      - .address_space:  global
        .offset:         0
        .size:           8
        .value_kind:     global_buffer
      - .address_space:  global
        .offset:         8
        .size:           8
        .value_kind:     global_buffer
      - .offset:         16
        .size:           4
        .value_kind:     hidden_block_count_x
      - .offset:         20
        .size:           4
        .value_kind:     hidden_block_count_y
      - .offset:         24
        .size:           4
        .value_kind:     hidden_block_count_z
      - .offset:         28
        .size:           2
        .value_kind:     hidden_group_size_x
      - .offset:         30
        .size:           2
        .value_kind:     hidden_group_size_y
      - .offset:         32
        .size:           2
        .value_kind:     hidden_group_size_z
      - .offset:         34
        .size:           2
        .value_kind:     hidden_remainder_x
      - .offset:         36
        .size:           2
        .value_kind:     hidden_remainder_y
      - .offset:         38
        .size:           2
        .value_kind:     hidden_remainder_z
      - .offset:         56
        .size:           8
        .value_kind:     hidden_global_offset_x
      - .offset:         64
        .size:           8
        .value_kind:     hidden_global_offset_y
      - .offset:         72
        .size:           8
        .value_kind:     hidden_global_offset_z
      - .offset:         80
        .size:           2
        .value_kind:     hidden_grid_dims
    .group_segment_fixed_size: 0
    .kernarg_segment_align: 8
    .kernarg_segment_size: 272
    .language:       OpenCL C
    .language_version:
      - 2
      - 0
    .max_flat_workgroup_size: 64
    .name:           _Z18warp_reduce_kernelIfLj16ELj100EENSt9enable_ifIXsr15benchmark_utilsE35device_test_enabled_for_warp_size_vIXT0_EEEvE4typeEPKT_PS3_
    .private_segment_fixed_size: 0
    .sgpr_count:     18
    .sgpr_spill_count: 0
    .symbol:         _Z18warp_reduce_kernelIfLj16ELj100EENSt9enable_ifIXsr15benchmark_utilsE35device_test_enabled_for_warp_size_vIXT0_EEEvE4typeEPKT_PS3_.kd
    .uniform_work_group_size: 1
    .uses_dynamic_stack: false
    .vgpr_count:     8
    .vgpr_spill_count: 0
    .wavefront_size: 32
    .workgroup_processor_mode: 1
  - .args:
      - .address_space:  global
        .offset:         0
        .size:           8
        .value_kind:     global_buffer
      - .address_space:  global
        .offset:         8
        .size:           8
        .value_kind:     global_buffer
      - .offset:         16
        .size:           4
        .value_kind:     hidden_block_count_x
      - .offset:         20
        .size:           4
        .value_kind:     hidden_block_count_y
      - .offset:         24
        .size:           4
        .value_kind:     hidden_block_count_z
      - .offset:         28
        .size:           2
        .value_kind:     hidden_group_size_x
      - .offset:         30
        .size:           2
        .value_kind:     hidden_group_size_y
      - .offset:         32
        .size:           2
        .value_kind:     hidden_group_size_z
      - .offset:         34
        .size:           2
        .value_kind:     hidden_remainder_x
      - .offset:         36
        .size:           2
        .value_kind:     hidden_remainder_y
      - .offset:         38
        .size:           2
        .value_kind:     hidden_remainder_z
      - .offset:         56
        .size:           8
        .value_kind:     hidden_global_offset_x
      - .offset:         64
        .size:           8
        .value_kind:     hidden_global_offset_y
      - .offset:         72
        .size:           8
        .value_kind:     hidden_global_offset_z
      - .offset:         80
        .size:           2
        .value_kind:     hidden_grid_dims
    .group_segment_fixed_size: 124
    .kernarg_segment_align: 8
    .kernarg_segment_size: 272
    .language:       OpenCL C
    .language_version:
      - 2
      - 0
    .max_flat_workgroup_size: 64
    .name:           _Z18warp_reduce_kernelIfLj31ELj100EENSt9enable_ifIXsr15benchmark_utilsE35device_test_enabled_for_warp_size_vIXT0_EEEvE4typeEPKT_PS3_
    .private_segment_fixed_size: 0
    .sgpr_count:     18
    .sgpr_spill_count: 0
    .symbol:         _Z18warp_reduce_kernelIfLj31ELj100EENSt9enable_ifIXsr15benchmark_utilsE35device_test_enabled_for_warp_size_vIXT0_EEEvE4typeEPKT_PS3_.kd
    .uniform_work_group_size: 1
    .uses_dynamic_stack: false
    .vgpr_count:     6
    .vgpr_spill_count: 0
    .wavefront_size: 32
    .workgroup_processor_mode: 1
  - .args:
      - .address_space:  global
        .offset:         0
        .size:           8
        .value_kind:     global_buffer
      - .address_space:  global
        .offset:         8
        .size:           8
        .value_kind:     global_buffer
      - .offset:         16
        .size:           4
        .value_kind:     hidden_block_count_x
      - .offset:         20
        .size:           4
        .value_kind:     hidden_block_count_y
      - .offset:         24
        .size:           4
        .value_kind:     hidden_block_count_z
      - .offset:         28
        .size:           2
        .value_kind:     hidden_group_size_x
      - .offset:         30
        .size:           2
        .value_kind:     hidden_group_size_y
      - .offset:         32
        .size:           2
        .value_kind:     hidden_group_size_z
      - .offset:         34
        .size:           2
        .value_kind:     hidden_remainder_x
      - .offset:         36
        .size:           2
        .value_kind:     hidden_remainder_y
      - .offset:         38
        .size:           2
        .value_kind:     hidden_remainder_z
      - .offset:         56
        .size:           8
        .value_kind:     hidden_global_offset_x
      - .offset:         64
        .size:           8
        .value_kind:     hidden_global_offset_y
      - .offset:         72
        .size:           8
        .value_kind:     hidden_global_offset_z
      - .offset:         80
        .size:           2
        .value_kind:     hidden_grid_dims
    .group_segment_fixed_size: 0
    .kernarg_segment_align: 8
    .kernarg_segment_size: 272
    .language:       OpenCL C
    .language_version:
      - 2
      - 0
    .max_flat_workgroup_size: 64
    .name:           _Z18warp_reduce_kernelIfLj32ELj100EENSt9enable_ifIXsr15benchmark_utilsE35device_test_enabled_for_warp_size_vIXT0_EEEvE4typeEPKT_PS3_
    .private_segment_fixed_size: 0
    .sgpr_count:     18
    .sgpr_spill_count: 0
    .symbol:         _Z18warp_reduce_kernelIfLj32ELj100EENSt9enable_ifIXsr15benchmark_utilsE35device_test_enabled_for_warp_size_vIXT0_EEEvE4typeEPKT_PS3_.kd
    .uniform_work_group_size: 1
    .uses_dynamic_stack: false
    .vgpr_count:     5
    .vgpr_spill_count: 0
    .wavefront_size: 32
    .workgroup_processor_mode: 1
  - .args:
      - .address_space:  global
        .offset:         0
        .size:           8
        .value_kind:     global_buffer
      - .address_space:  global
        .offset:         8
        .size:           8
        .value_kind:     global_buffer
    .group_segment_fixed_size: 0
    .kernarg_segment_align: 8
    .kernarg_segment_size: 16
    .language:       OpenCL C
    .language_version:
      - 2
      - 0
    .max_flat_workgroup_size: 64
    .name:           _Z18warp_reduce_kernelIfLj37ELj100EENSt9enable_ifIXntsr15benchmark_utilsE35device_test_enabled_for_warp_size_vIXT0_EEEvE4typeEPKT_PS3_
    .private_segment_fixed_size: 0
    .sgpr_count:     0
    .sgpr_spill_count: 0
    .symbol:         _Z18warp_reduce_kernelIfLj37ELj100EENSt9enable_ifIXntsr15benchmark_utilsE35device_test_enabled_for_warp_size_vIXT0_EEEvE4typeEPKT_PS3_.kd
    .uniform_work_group_size: 1
    .uses_dynamic_stack: false
    .vgpr_count:     0
    .vgpr_spill_count: 0
    .wavefront_size: 32
    .workgroup_processor_mode: 1
  - .args:
      - .address_space:  global
        .offset:         0
        .size:           8
        .value_kind:     global_buffer
      - .address_space:  global
        .offset:         8
        .size:           8
        .value_kind:     global_buffer
    .group_segment_fixed_size: 0
    .kernarg_segment_align: 8
    .kernarg_segment_size: 16
    .language:       OpenCL C
    .language_version:
      - 2
      - 0
    .max_flat_workgroup_size: 64
    .name:           _Z18warp_reduce_kernelIfLj61ELj100EENSt9enable_ifIXntsr15benchmark_utilsE35device_test_enabled_for_warp_size_vIXT0_EEEvE4typeEPKT_PS3_
    .private_segment_fixed_size: 0
    .sgpr_count:     0
    .sgpr_spill_count: 0
    .symbol:         _Z18warp_reduce_kernelIfLj61ELj100EENSt9enable_ifIXntsr15benchmark_utilsE35device_test_enabled_for_warp_size_vIXT0_EEEvE4typeEPKT_PS3_.kd
    .uniform_work_group_size: 1
    .uses_dynamic_stack: false
    .vgpr_count:     0
    .vgpr_spill_count: 0
    .wavefront_size: 32
    .workgroup_processor_mode: 1
  - .args:
      - .address_space:  global
        .offset:         0
        .size:           8
        .value_kind:     global_buffer
      - .address_space:  global
        .offset:         8
        .size:           8
        .value_kind:     global_buffer
    .group_segment_fixed_size: 0
    .kernarg_segment_align: 8
    .kernarg_segment_size: 16
    .language:       OpenCL C
    .language_version:
      - 2
      - 0
    .max_flat_workgroup_size: 64
    .name:           _Z18warp_reduce_kernelIfLj64ELj100EENSt9enable_ifIXntsr15benchmark_utilsE35device_test_enabled_for_warp_size_vIXT0_EEEvE4typeEPKT_PS3_
    .private_segment_fixed_size: 0
    .sgpr_count:     0
    .sgpr_spill_count: 0
    .symbol:         _Z18warp_reduce_kernelIfLj64ELj100EENSt9enable_ifIXntsr15benchmark_utilsE35device_test_enabled_for_warp_size_vIXT0_EEEvE4typeEPKT_PS3_.kd
    .uniform_work_group_size: 1
    .uses_dynamic_stack: false
    .vgpr_count:     0
    .vgpr_spill_count: 0
    .wavefront_size: 32
    .workgroup_processor_mode: 1
  - .args:
      - .address_space:  global
        .offset:         0
        .size:           8
        .value_kind:     global_buffer
      - .address_space:  global
        .offset:         8
        .size:           8
        .value_kind:     global_buffer
      - .offset:         16
        .size:           4
        .value_kind:     hidden_block_count_x
      - .offset:         20
        .size:           4
        .value_kind:     hidden_block_count_y
      - .offset:         24
        .size:           4
        .value_kind:     hidden_block_count_z
      - .offset:         28
        .size:           2
        .value_kind:     hidden_group_size_x
      - .offset:         30
        .size:           2
        .value_kind:     hidden_group_size_y
      - .offset:         32
        .size:           2
        .value_kind:     hidden_group_size_z
      - .offset:         34
        .size:           2
        .value_kind:     hidden_remainder_x
      - .offset:         36
        .size:           2
        .value_kind:     hidden_remainder_y
      - .offset:         38
        .size:           2
        .value_kind:     hidden_remainder_z
      - .offset:         56
        .size:           8
        .value_kind:     hidden_global_offset_x
      - .offset:         64
        .size:           8
        .value_kind:     hidden_global_offset_y
      - .offset:         72
        .size:           8
        .value_kind:     hidden_global_offset_z
      - .offset:         80
        .size:           2
        .value_kind:     hidden_grid_dims
    .group_segment_fixed_size: 120
    .kernarg_segment_align: 8
    .kernarg_segment_size: 272
    .language:       OpenCL C
    .language_version:
      - 2
      - 0
    .max_flat_workgroup_size: 64
    .name:           _Z18warp_reduce_kernelIdLj15ELj100EENSt9enable_ifIXsr15benchmark_utilsE35device_test_enabled_for_warp_size_vIXT0_EEEvE4typeEPKT_PS3_
    .private_segment_fixed_size: 0
    .sgpr_count:     18
    .sgpr_spill_count: 0
    .symbol:         _Z18warp_reduce_kernelIdLj15ELj100EENSt9enable_ifIXsr15benchmark_utilsE35device_test_enabled_for_warp_size_vIXT0_EEEvE4typeEPKT_PS3_.kd
    .uniform_work_group_size: 1
    .uses_dynamic_stack: false
    .vgpr_count:     10
    .vgpr_spill_count: 0
    .wavefront_size: 32
    .workgroup_processor_mode: 1
  - .args:
      - .address_space:  global
        .offset:         0
        .size:           8
        .value_kind:     global_buffer
      - .address_space:  global
        .offset:         8
        .size:           8
        .value_kind:     global_buffer
      - .offset:         16
        .size:           4
        .value_kind:     hidden_block_count_x
      - .offset:         20
        .size:           4
        .value_kind:     hidden_block_count_y
      - .offset:         24
        .size:           4
        .value_kind:     hidden_block_count_z
      - .offset:         28
        .size:           2
        .value_kind:     hidden_group_size_x
      - .offset:         30
        .size:           2
        .value_kind:     hidden_group_size_y
      - .offset:         32
        .size:           2
        .value_kind:     hidden_group_size_z
      - .offset:         34
        .size:           2
        .value_kind:     hidden_remainder_x
      - .offset:         36
        .size:           2
        .value_kind:     hidden_remainder_y
      - .offset:         38
        .size:           2
        .value_kind:     hidden_remainder_z
      - .offset:         56
        .size:           8
        .value_kind:     hidden_global_offset_x
      - .offset:         64
        .size:           8
        .value_kind:     hidden_global_offset_y
      - .offset:         72
        .size:           8
        .value_kind:     hidden_global_offset_z
      - .offset:         80
        .size:           2
        .value_kind:     hidden_grid_dims
    .group_segment_fixed_size: 0
    .kernarg_segment_align: 8
    .kernarg_segment_size: 272
    .language:       OpenCL C
    .language_version:
      - 2
      - 0
    .max_flat_workgroup_size: 64
    .name:           _Z18warp_reduce_kernelIdLj16ELj100EENSt9enable_ifIXsr15benchmark_utilsE35device_test_enabled_for_warp_size_vIXT0_EEEvE4typeEPKT_PS3_
    .private_segment_fixed_size: 0
    .sgpr_count:     18
    .sgpr_spill_count: 0
    .symbol:         _Z18warp_reduce_kernelIdLj16ELj100EENSt9enable_ifIXsr15benchmark_utilsE35device_test_enabled_for_warp_size_vIXT0_EEEvE4typeEPKT_PS3_.kd
    .uniform_work_group_size: 1
    .uses_dynamic_stack: false
    .vgpr_count:     10
    .vgpr_spill_count: 0
    .wavefront_size: 32
    .workgroup_processor_mode: 1
  - .args:
      - .address_space:  global
        .offset:         0
        .size:           8
        .value_kind:     global_buffer
      - .address_space:  global
        .offset:         8
        .size:           8
        .value_kind:     global_buffer
      - .offset:         16
        .size:           4
        .value_kind:     hidden_block_count_x
      - .offset:         20
        .size:           4
        .value_kind:     hidden_block_count_y
      - .offset:         24
        .size:           4
        .value_kind:     hidden_block_count_z
      - .offset:         28
        .size:           2
        .value_kind:     hidden_group_size_x
      - .offset:         30
        .size:           2
        .value_kind:     hidden_group_size_y
      - .offset:         32
        .size:           2
        .value_kind:     hidden_group_size_z
      - .offset:         34
        .size:           2
        .value_kind:     hidden_remainder_x
      - .offset:         36
        .size:           2
        .value_kind:     hidden_remainder_y
      - .offset:         38
        .size:           2
        .value_kind:     hidden_remainder_z
      - .offset:         56
        .size:           8
        .value_kind:     hidden_global_offset_x
      - .offset:         64
        .size:           8
        .value_kind:     hidden_global_offset_y
      - .offset:         72
        .size:           8
        .value_kind:     hidden_global_offset_z
      - .offset:         80
        .size:           2
        .value_kind:     hidden_grid_dims
    .group_segment_fixed_size: 248
    .kernarg_segment_align: 8
    .kernarg_segment_size: 272
    .language:       OpenCL C
    .language_version:
      - 2
      - 0
    .max_flat_workgroup_size: 64
    .name:           _Z18warp_reduce_kernelIdLj31ELj100EENSt9enable_ifIXsr15benchmark_utilsE35device_test_enabled_for_warp_size_vIXT0_EEEvE4typeEPKT_PS3_
    .private_segment_fixed_size: 0
    .sgpr_count:     18
    .sgpr_spill_count: 0
    .symbol:         _Z18warp_reduce_kernelIdLj31ELj100EENSt9enable_ifIXsr15benchmark_utilsE35device_test_enabled_for_warp_size_vIXT0_EEEvE4typeEPKT_PS3_.kd
    .uniform_work_group_size: 1
    .uses_dynamic_stack: false
    .vgpr_count:     10
    .vgpr_spill_count: 0
    .wavefront_size: 32
    .workgroup_processor_mode: 1
  - .args:
      - .address_space:  global
        .offset:         0
        .size:           8
        .value_kind:     global_buffer
      - .address_space:  global
        .offset:         8
        .size:           8
        .value_kind:     global_buffer
      - .offset:         16
        .size:           4
        .value_kind:     hidden_block_count_x
      - .offset:         20
        .size:           4
        .value_kind:     hidden_block_count_y
      - .offset:         24
        .size:           4
        .value_kind:     hidden_block_count_z
      - .offset:         28
        .size:           2
        .value_kind:     hidden_group_size_x
      - .offset:         30
        .size:           2
        .value_kind:     hidden_group_size_y
      - .offset:         32
        .size:           2
        .value_kind:     hidden_group_size_z
      - .offset:         34
        .size:           2
        .value_kind:     hidden_remainder_x
      - .offset:         36
        .size:           2
        .value_kind:     hidden_remainder_y
      - .offset:         38
        .size:           2
        .value_kind:     hidden_remainder_z
      - .offset:         56
        .size:           8
        .value_kind:     hidden_global_offset_x
      - .offset:         64
        .size:           8
        .value_kind:     hidden_global_offset_y
      - .offset:         72
        .size:           8
        .value_kind:     hidden_global_offset_z
      - .offset:         80
        .size:           2
        .value_kind:     hidden_grid_dims
    .group_segment_fixed_size: 0
    .kernarg_segment_align: 8
    .kernarg_segment_size: 272
    .language:       OpenCL C
    .language_version:
      - 2
      - 0
    .max_flat_workgroup_size: 64
    .name:           _Z18warp_reduce_kernelIdLj32ELj100EENSt9enable_ifIXsr15benchmark_utilsE35device_test_enabled_for_warp_size_vIXT0_EEEvE4typeEPKT_PS3_
    .private_segment_fixed_size: 0
    .sgpr_count:     18
    .sgpr_spill_count: 0
    .symbol:         _Z18warp_reduce_kernelIdLj32ELj100EENSt9enable_ifIXsr15benchmark_utilsE35device_test_enabled_for_warp_size_vIXT0_EEEvE4typeEPKT_PS3_.kd
    .uniform_work_group_size: 1
    .uses_dynamic_stack: false
    .vgpr_count:     7
    .vgpr_spill_count: 0
    .wavefront_size: 32
    .workgroup_processor_mode: 1
  - .args:
      - .address_space:  global
        .offset:         0
        .size:           8
        .value_kind:     global_buffer
      - .address_space:  global
        .offset:         8
        .size:           8
        .value_kind:     global_buffer
    .group_segment_fixed_size: 0
    .kernarg_segment_align: 8
    .kernarg_segment_size: 16
    .language:       OpenCL C
    .language_version:
      - 2
      - 0
    .max_flat_workgroup_size: 64
    .name:           _Z18warp_reduce_kernelIdLj37ELj100EENSt9enable_ifIXntsr15benchmark_utilsE35device_test_enabled_for_warp_size_vIXT0_EEEvE4typeEPKT_PS3_
    .private_segment_fixed_size: 0
    .sgpr_count:     0
    .sgpr_spill_count: 0
    .symbol:         _Z18warp_reduce_kernelIdLj37ELj100EENSt9enable_ifIXntsr15benchmark_utilsE35device_test_enabled_for_warp_size_vIXT0_EEEvE4typeEPKT_PS3_.kd
    .uniform_work_group_size: 1
    .uses_dynamic_stack: false
    .vgpr_count:     0
    .vgpr_spill_count: 0
    .wavefront_size: 32
    .workgroup_processor_mode: 1
  - .args:
      - .address_space:  global
        .offset:         0
        .size:           8
        .value_kind:     global_buffer
      - .address_space:  global
        .offset:         8
        .size:           8
        .value_kind:     global_buffer
    .group_segment_fixed_size: 0
    .kernarg_segment_align: 8
    .kernarg_segment_size: 16
    .language:       OpenCL C
    .language_version:
      - 2
      - 0
    .max_flat_workgroup_size: 64
    .name:           _Z18warp_reduce_kernelIdLj61ELj100EENSt9enable_ifIXntsr15benchmark_utilsE35device_test_enabled_for_warp_size_vIXT0_EEEvE4typeEPKT_PS3_
    .private_segment_fixed_size: 0
    .sgpr_count:     0
    .sgpr_spill_count: 0
    .symbol:         _Z18warp_reduce_kernelIdLj61ELj100EENSt9enable_ifIXntsr15benchmark_utilsE35device_test_enabled_for_warp_size_vIXT0_EEEvE4typeEPKT_PS3_.kd
    .uniform_work_group_size: 1
    .uses_dynamic_stack: false
    .vgpr_count:     0
    .vgpr_spill_count: 0
    .wavefront_size: 32
    .workgroup_processor_mode: 1
  - .args:
      - .address_space:  global
        .offset:         0
        .size:           8
        .value_kind:     global_buffer
      - .address_space:  global
        .offset:         8
        .size:           8
        .value_kind:     global_buffer
    .group_segment_fixed_size: 0
    .kernarg_segment_align: 8
    .kernarg_segment_size: 16
    .language:       OpenCL C
    .language_version:
      - 2
      - 0
    .max_flat_workgroup_size: 64
    .name:           _Z18warp_reduce_kernelIdLj64ELj100EENSt9enable_ifIXntsr15benchmark_utilsE35device_test_enabled_for_warp_size_vIXT0_EEEvE4typeEPKT_PS3_
    .private_segment_fixed_size: 0
    .sgpr_count:     0
    .sgpr_spill_count: 0
    .symbol:         _Z18warp_reduce_kernelIdLj64ELj100EENSt9enable_ifIXntsr15benchmark_utilsE35device_test_enabled_for_warp_size_vIXT0_EEEvE4typeEPKT_PS3_.kd
    .uniform_work_group_size: 1
    .uses_dynamic_stack: false
    .vgpr_count:     0
    .vgpr_spill_count: 0
    .wavefront_size: 32
    .workgroup_processor_mode: 1
  - .args:
      - .address_space:  global
        .offset:         0
        .size:           8
        .value_kind:     global_buffer
      - .address_space:  global
        .offset:         8
        .size:           8
        .value_kind:     global_buffer
      - .offset:         16
        .size:           4
        .value_kind:     hidden_block_count_x
      - .offset:         20
        .size:           4
        .value_kind:     hidden_block_count_y
      - .offset:         24
        .size:           4
        .value_kind:     hidden_block_count_z
      - .offset:         28
        .size:           2
        .value_kind:     hidden_group_size_x
      - .offset:         30
        .size:           2
        .value_kind:     hidden_group_size_y
      - .offset:         32
        .size:           2
        .value_kind:     hidden_group_size_z
      - .offset:         34
        .size:           2
        .value_kind:     hidden_remainder_x
      - .offset:         36
        .size:           2
        .value_kind:     hidden_remainder_y
      - .offset:         38
        .size:           2
        .value_kind:     hidden_remainder_z
      - .offset:         56
        .size:           8
        .value_kind:     hidden_global_offset_x
      - .offset:         64
        .size:           8
        .value_kind:     hidden_global_offset_y
      - .offset:         72
        .size:           8
        .value_kind:     hidden_global_offset_z
      - .offset:         80
        .size:           2
        .value_kind:     hidden_grid_dims
    .group_segment_fixed_size: 15
    .kernarg_segment_align: 8
    .kernarg_segment_size: 272
    .language:       OpenCL C
    .language_version:
      - 2
      - 0
    .max_flat_workgroup_size: 64
    .name:           _Z18warp_reduce_kernelIaLj15ELj100EENSt9enable_ifIXsr15benchmark_utilsE35device_test_enabled_for_warp_size_vIXT0_EEEvE4typeEPKT_PS3_
    .private_segment_fixed_size: 0
    .sgpr_count:     18
    .sgpr_spill_count: 0
    .symbol:         _Z18warp_reduce_kernelIaLj15ELj100EENSt9enable_ifIXsr15benchmark_utilsE35device_test_enabled_for_warp_size_vIXT0_EEEvE4typeEPKT_PS3_.kd
    .uniform_work_group_size: 1
    .uses_dynamic_stack: false
    .vgpr_count:     5
    .vgpr_spill_count: 0
    .wavefront_size: 32
    .workgroup_processor_mode: 1
  - .args:
      - .address_space:  global
        .offset:         0
        .size:           8
        .value_kind:     global_buffer
      - .address_space:  global
        .offset:         8
        .size:           8
        .value_kind:     global_buffer
      - .offset:         16
        .size:           4
        .value_kind:     hidden_block_count_x
      - .offset:         20
        .size:           4
        .value_kind:     hidden_block_count_y
      - .offset:         24
        .size:           4
        .value_kind:     hidden_block_count_z
      - .offset:         28
        .size:           2
        .value_kind:     hidden_group_size_x
      - .offset:         30
        .size:           2
        .value_kind:     hidden_group_size_y
      - .offset:         32
        .size:           2
        .value_kind:     hidden_group_size_z
      - .offset:         34
        .size:           2
        .value_kind:     hidden_remainder_x
      - .offset:         36
        .size:           2
        .value_kind:     hidden_remainder_y
      - .offset:         38
        .size:           2
        .value_kind:     hidden_remainder_z
      - .offset:         56
        .size:           8
        .value_kind:     hidden_global_offset_x
      - .offset:         64
        .size:           8
        .value_kind:     hidden_global_offset_y
      - .offset:         72
        .size:           8
        .value_kind:     hidden_global_offset_z
      - .offset:         80
        .size:           2
        .value_kind:     hidden_grid_dims
    .group_segment_fixed_size: 0
    .kernarg_segment_align: 8
    .kernarg_segment_size: 272
    .language:       OpenCL C
    .language_version:
      - 2
      - 0
    .max_flat_workgroup_size: 64
    .name:           _Z18warp_reduce_kernelIaLj16ELj100EENSt9enable_ifIXsr15benchmark_utilsE35device_test_enabled_for_warp_size_vIXT0_EEEvE4typeEPKT_PS3_
    .private_segment_fixed_size: 0
    .sgpr_count:     18
    .sgpr_spill_count: 0
    .symbol:         _Z18warp_reduce_kernelIaLj16ELj100EENSt9enable_ifIXsr15benchmark_utilsE35device_test_enabled_for_warp_size_vIXT0_EEEvE4typeEPKT_PS3_.kd
    .uniform_work_group_size: 1
    .uses_dynamic_stack: false
    .vgpr_count:     7
    .vgpr_spill_count: 0
    .wavefront_size: 32
    .workgroup_processor_mode: 1
  - .args:
      - .address_space:  global
        .offset:         0
        .size:           8
        .value_kind:     global_buffer
      - .address_space:  global
        .offset:         8
        .size:           8
        .value_kind:     global_buffer
      - .offset:         16
        .size:           4
        .value_kind:     hidden_block_count_x
      - .offset:         20
        .size:           4
        .value_kind:     hidden_block_count_y
      - .offset:         24
        .size:           4
        .value_kind:     hidden_block_count_z
      - .offset:         28
        .size:           2
        .value_kind:     hidden_group_size_x
      - .offset:         30
        .size:           2
        .value_kind:     hidden_group_size_y
      - .offset:         32
        .size:           2
        .value_kind:     hidden_group_size_z
      - .offset:         34
        .size:           2
        .value_kind:     hidden_remainder_x
      - .offset:         36
        .size:           2
        .value_kind:     hidden_remainder_y
      - .offset:         38
        .size:           2
        .value_kind:     hidden_remainder_z
      - .offset:         56
        .size:           8
        .value_kind:     hidden_global_offset_x
      - .offset:         64
        .size:           8
        .value_kind:     hidden_global_offset_y
      - .offset:         72
        .size:           8
        .value_kind:     hidden_global_offset_z
      - .offset:         80
        .size:           2
        .value_kind:     hidden_grid_dims
    .group_segment_fixed_size: 31
    .kernarg_segment_align: 8
    .kernarg_segment_size: 272
    .language:       OpenCL C
    .language_version:
      - 2
      - 0
    .max_flat_workgroup_size: 64
    .name:           _Z18warp_reduce_kernelIaLj31ELj100EENSt9enable_ifIXsr15benchmark_utilsE35device_test_enabled_for_warp_size_vIXT0_EEEvE4typeEPKT_PS3_
    .private_segment_fixed_size: 0
    .sgpr_count:     18
    .sgpr_spill_count: 0
    .symbol:         _Z18warp_reduce_kernelIaLj31ELj100EENSt9enable_ifIXsr15benchmark_utilsE35device_test_enabled_for_warp_size_vIXT0_EEEvE4typeEPKT_PS3_.kd
    .uniform_work_group_size: 1
    .uses_dynamic_stack: false
    .vgpr_count:     5
    .vgpr_spill_count: 0
    .wavefront_size: 32
    .workgroup_processor_mode: 1
  - .args:
      - .address_space:  global
        .offset:         0
        .size:           8
        .value_kind:     global_buffer
      - .address_space:  global
        .offset:         8
        .size:           8
        .value_kind:     global_buffer
      - .offset:         16
        .size:           4
        .value_kind:     hidden_block_count_x
      - .offset:         20
        .size:           4
        .value_kind:     hidden_block_count_y
      - .offset:         24
        .size:           4
        .value_kind:     hidden_block_count_z
      - .offset:         28
        .size:           2
        .value_kind:     hidden_group_size_x
      - .offset:         30
        .size:           2
        .value_kind:     hidden_group_size_y
      - .offset:         32
        .size:           2
        .value_kind:     hidden_group_size_z
      - .offset:         34
        .size:           2
        .value_kind:     hidden_remainder_x
      - .offset:         36
        .size:           2
        .value_kind:     hidden_remainder_y
      - .offset:         38
        .size:           2
        .value_kind:     hidden_remainder_z
      - .offset:         56
        .size:           8
        .value_kind:     hidden_global_offset_x
      - .offset:         64
        .size:           8
        .value_kind:     hidden_global_offset_y
      - .offset:         72
        .size:           8
        .value_kind:     hidden_global_offset_z
      - .offset:         80
        .size:           2
        .value_kind:     hidden_grid_dims
    .group_segment_fixed_size: 0
    .kernarg_segment_align: 8
    .kernarg_segment_size: 272
    .language:       OpenCL C
    .language_version:
      - 2
      - 0
    .max_flat_workgroup_size: 64
    .name:           _Z18warp_reduce_kernelIaLj32ELj100EENSt9enable_ifIXsr15benchmark_utilsE35device_test_enabled_for_warp_size_vIXT0_EEEvE4typeEPKT_PS3_
    .private_segment_fixed_size: 0
    .sgpr_count:     16
    .sgpr_spill_count: 0
    .symbol:         _Z18warp_reduce_kernelIaLj32ELj100EENSt9enable_ifIXsr15benchmark_utilsE35device_test_enabled_for_warp_size_vIXT0_EEEvE4typeEPKT_PS3_.kd
    .uniform_work_group_size: 1
    .uses_dynamic_stack: false
    .vgpr_count:     4
    .vgpr_spill_count: 0
    .wavefront_size: 32
    .workgroup_processor_mode: 1
  - .args:
      - .address_space:  global
        .offset:         0
        .size:           8
        .value_kind:     global_buffer
      - .address_space:  global
        .offset:         8
        .size:           8
        .value_kind:     global_buffer
    .group_segment_fixed_size: 0
    .kernarg_segment_align: 8
    .kernarg_segment_size: 16
    .language:       OpenCL C
    .language_version:
      - 2
      - 0
    .max_flat_workgroup_size: 64
    .name:           _Z18warp_reduce_kernelIaLj37ELj100EENSt9enable_ifIXntsr15benchmark_utilsE35device_test_enabled_for_warp_size_vIXT0_EEEvE4typeEPKT_PS3_
    .private_segment_fixed_size: 0
    .sgpr_count:     0
    .sgpr_spill_count: 0
    .symbol:         _Z18warp_reduce_kernelIaLj37ELj100EENSt9enable_ifIXntsr15benchmark_utilsE35device_test_enabled_for_warp_size_vIXT0_EEEvE4typeEPKT_PS3_.kd
    .uniform_work_group_size: 1
    .uses_dynamic_stack: false
    .vgpr_count:     0
    .vgpr_spill_count: 0
    .wavefront_size: 32
    .workgroup_processor_mode: 1
  - .args:
      - .address_space:  global
        .offset:         0
        .size:           8
        .value_kind:     global_buffer
      - .address_space:  global
        .offset:         8
        .size:           8
        .value_kind:     global_buffer
    .group_segment_fixed_size: 0
    .kernarg_segment_align: 8
    .kernarg_segment_size: 16
    .language:       OpenCL C
    .language_version:
      - 2
      - 0
    .max_flat_workgroup_size: 64
    .name:           _Z18warp_reduce_kernelIaLj61ELj100EENSt9enable_ifIXntsr15benchmark_utilsE35device_test_enabled_for_warp_size_vIXT0_EEEvE4typeEPKT_PS3_
    .private_segment_fixed_size: 0
    .sgpr_count:     0
    .sgpr_spill_count: 0
    .symbol:         _Z18warp_reduce_kernelIaLj61ELj100EENSt9enable_ifIXntsr15benchmark_utilsE35device_test_enabled_for_warp_size_vIXT0_EEEvE4typeEPKT_PS3_.kd
    .uniform_work_group_size: 1
    .uses_dynamic_stack: false
    .vgpr_count:     0
    .vgpr_spill_count: 0
    .wavefront_size: 32
    .workgroup_processor_mode: 1
  - .args:
      - .address_space:  global
        .offset:         0
        .size:           8
        .value_kind:     global_buffer
      - .address_space:  global
        .offset:         8
        .size:           8
        .value_kind:     global_buffer
    .group_segment_fixed_size: 0
    .kernarg_segment_align: 8
    .kernarg_segment_size: 16
    .language:       OpenCL C
    .language_version:
      - 2
      - 0
    .max_flat_workgroup_size: 64
    .name:           _Z18warp_reduce_kernelIaLj64ELj100EENSt9enable_ifIXntsr15benchmark_utilsE35device_test_enabled_for_warp_size_vIXT0_EEEvE4typeEPKT_PS3_
    .private_segment_fixed_size: 0
    .sgpr_count:     0
    .sgpr_spill_count: 0
    .symbol:         _Z18warp_reduce_kernelIaLj64ELj100EENSt9enable_ifIXntsr15benchmark_utilsE35device_test_enabled_for_warp_size_vIXT0_EEEvE4typeEPKT_PS3_.kd
    .uniform_work_group_size: 1
    .uses_dynamic_stack: false
    .vgpr_count:     0
    .vgpr_spill_count: 0
    .wavefront_size: 32
    .workgroup_processor_mode: 1
  - .args:
      - .address_space:  global
        .offset:         0
        .size:           8
        .value_kind:     global_buffer
      - .address_space:  global
        .offset:         8
        .size:           8
        .value_kind:     global_buffer
      - .offset:         16
        .size:           4
        .value_kind:     hidden_block_count_x
      - .offset:         20
        .size:           4
        .value_kind:     hidden_block_count_y
      - .offset:         24
        .size:           4
        .value_kind:     hidden_block_count_z
      - .offset:         28
        .size:           2
        .value_kind:     hidden_group_size_x
      - .offset:         30
        .size:           2
        .value_kind:     hidden_group_size_y
      - .offset:         32
        .size:           2
        .value_kind:     hidden_group_size_z
      - .offset:         34
        .size:           2
        .value_kind:     hidden_remainder_x
      - .offset:         36
        .size:           2
        .value_kind:     hidden_remainder_y
      - .offset:         38
        .size:           2
        .value_kind:     hidden_remainder_z
      - .offset:         56
        .size:           8
        .value_kind:     hidden_global_offset_x
      - .offset:         64
        .size:           8
        .value_kind:     hidden_global_offset_y
      - .offset:         72
        .size:           8
        .value_kind:     hidden_global_offset_z
      - .offset:         80
        .size:           2
        .value_kind:     hidden_grid_dims
    .group_segment_fixed_size: 15
    .kernarg_segment_align: 8
    .kernarg_segment_size: 272
    .language:       OpenCL C
    .language_version:
      - 2
      - 0
    .max_flat_workgroup_size: 64
    .name:           _Z18warp_reduce_kernelIhLj15ELj100EENSt9enable_ifIXsr15benchmark_utilsE35device_test_enabled_for_warp_size_vIXT0_EEEvE4typeEPKT_PS3_
    .private_segment_fixed_size: 0
    .sgpr_count:     18
    .sgpr_spill_count: 0
    .symbol:         _Z18warp_reduce_kernelIhLj15ELj100EENSt9enable_ifIXsr15benchmark_utilsE35device_test_enabled_for_warp_size_vIXT0_EEEvE4typeEPKT_PS3_.kd
    .uniform_work_group_size: 1
    .uses_dynamic_stack: false
    .vgpr_count:     5
    .vgpr_spill_count: 0
    .wavefront_size: 32
    .workgroup_processor_mode: 1
  - .args:
      - .address_space:  global
        .offset:         0
        .size:           8
        .value_kind:     global_buffer
      - .address_space:  global
        .offset:         8
        .size:           8
        .value_kind:     global_buffer
      - .offset:         16
        .size:           4
        .value_kind:     hidden_block_count_x
      - .offset:         20
        .size:           4
        .value_kind:     hidden_block_count_y
      - .offset:         24
        .size:           4
        .value_kind:     hidden_block_count_z
      - .offset:         28
        .size:           2
        .value_kind:     hidden_group_size_x
      - .offset:         30
        .size:           2
        .value_kind:     hidden_group_size_y
      - .offset:         32
        .size:           2
        .value_kind:     hidden_group_size_z
      - .offset:         34
        .size:           2
        .value_kind:     hidden_remainder_x
      - .offset:         36
        .size:           2
        .value_kind:     hidden_remainder_y
      - .offset:         38
        .size:           2
        .value_kind:     hidden_remainder_z
      - .offset:         56
        .size:           8
        .value_kind:     hidden_global_offset_x
      - .offset:         64
        .size:           8
        .value_kind:     hidden_global_offset_y
      - .offset:         72
        .size:           8
        .value_kind:     hidden_global_offset_z
      - .offset:         80
        .size:           2
        .value_kind:     hidden_grid_dims
    .group_segment_fixed_size: 0
    .kernarg_segment_align: 8
    .kernarg_segment_size: 272
    .language:       OpenCL C
    .language_version:
      - 2
      - 0
    .max_flat_workgroup_size: 64
    .name:           _Z18warp_reduce_kernelIhLj16ELj100EENSt9enable_ifIXsr15benchmark_utilsE35device_test_enabled_for_warp_size_vIXT0_EEEvE4typeEPKT_PS3_
    .private_segment_fixed_size: 0
    .sgpr_count:     18
    .sgpr_spill_count: 0
    .symbol:         _Z18warp_reduce_kernelIhLj16ELj100EENSt9enable_ifIXsr15benchmark_utilsE35device_test_enabled_for_warp_size_vIXT0_EEEvE4typeEPKT_PS3_.kd
    .uniform_work_group_size: 1
    .uses_dynamic_stack: false
    .vgpr_count:     7
    .vgpr_spill_count: 0
    .wavefront_size: 32
    .workgroup_processor_mode: 1
  - .args:
      - .address_space:  global
        .offset:         0
        .size:           8
        .value_kind:     global_buffer
      - .address_space:  global
        .offset:         8
        .size:           8
        .value_kind:     global_buffer
      - .offset:         16
        .size:           4
        .value_kind:     hidden_block_count_x
      - .offset:         20
        .size:           4
        .value_kind:     hidden_block_count_y
      - .offset:         24
        .size:           4
        .value_kind:     hidden_block_count_z
      - .offset:         28
        .size:           2
        .value_kind:     hidden_group_size_x
      - .offset:         30
        .size:           2
        .value_kind:     hidden_group_size_y
      - .offset:         32
        .size:           2
        .value_kind:     hidden_group_size_z
      - .offset:         34
        .size:           2
        .value_kind:     hidden_remainder_x
      - .offset:         36
        .size:           2
        .value_kind:     hidden_remainder_y
      - .offset:         38
        .size:           2
        .value_kind:     hidden_remainder_z
      - .offset:         56
        .size:           8
        .value_kind:     hidden_global_offset_x
      - .offset:         64
        .size:           8
        .value_kind:     hidden_global_offset_y
      - .offset:         72
        .size:           8
        .value_kind:     hidden_global_offset_z
      - .offset:         80
        .size:           2
        .value_kind:     hidden_grid_dims
    .group_segment_fixed_size: 31
    .kernarg_segment_align: 8
    .kernarg_segment_size: 272
    .language:       OpenCL C
    .language_version:
      - 2
      - 0
    .max_flat_workgroup_size: 64
    .name:           _Z18warp_reduce_kernelIhLj31ELj100EENSt9enable_ifIXsr15benchmark_utilsE35device_test_enabled_for_warp_size_vIXT0_EEEvE4typeEPKT_PS3_
    .private_segment_fixed_size: 0
    .sgpr_count:     18
    .sgpr_spill_count: 0
    .symbol:         _Z18warp_reduce_kernelIhLj31ELj100EENSt9enable_ifIXsr15benchmark_utilsE35device_test_enabled_for_warp_size_vIXT0_EEEvE4typeEPKT_PS3_.kd
    .uniform_work_group_size: 1
    .uses_dynamic_stack: false
    .vgpr_count:     5
    .vgpr_spill_count: 0
    .wavefront_size: 32
    .workgroup_processor_mode: 1
  - .args:
      - .address_space:  global
        .offset:         0
        .size:           8
        .value_kind:     global_buffer
      - .address_space:  global
        .offset:         8
        .size:           8
        .value_kind:     global_buffer
      - .offset:         16
        .size:           4
        .value_kind:     hidden_block_count_x
      - .offset:         20
        .size:           4
        .value_kind:     hidden_block_count_y
      - .offset:         24
        .size:           4
        .value_kind:     hidden_block_count_z
      - .offset:         28
        .size:           2
        .value_kind:     hidden_group_size_x
      - .offset:         30
        .size:           2
        .value_kind:     hidden_group_size_y
      - .offset:         32
        .size:           2
        .value_kind:     hidden_group_size_z
      - .offset:         34
        .size:           2
        .value_kind:     hidden_remainder_x
      - .offset:         36
        .size:           2
        .value_kind:     hidden_remainder_y
      - .offset:         38
        .size:           2
        .value_kind:     hidden_remainder_z
      - .offset:         56
        .size:           8
        .value_kind:     hidden_global_offset_x
      - .offset:         64
        .size:           8
        .value_kind:     hidden_global_offset_y
      - .offset:         72
        .size:           8
        .value_kind:     hidden_global_offset_z
      - .offset:         80
        .size:           2
        .value_kind:     hidden_grid_dims
    .group_segment_fixed_size: 0
    .kernarg_segment_align: 8
    .kernarg_segment_size: 272
    .language:       OpenCL C
    .language_version:
      - 2
      - 0
    .max_flat_workgroup_size: 64
    .name:           _Z18warp_reduce_kernelIhLj32ELj100EENSt9enable_ifIXsr15benchmark_utilsE35device_test_enabled_for_warp_size_vIXT0_EEEvE4typeEPKT_PS3_
    .private_segment_fixed_size: 0
    .sgpr_count:     16
    .sgpr_spill_count: 0
    .symbol:         _Z18warp_reduce_kernelIhLj32ELj100EENSt9enable_ifIXsr15benchmark_utilsE35device_test_enabled_for_warp_size_vIXT0_EEEvE4typeEPKT_PS3_.kd
    .uniform_work_group_size: 1
    .uses_dynamic_stack: false
    .vgpr_count:     4
    .vgpr_spill_count: 0
    .wavefront_size: 32
    .workgroup_processor_mode: 1
  - .args:
      - .address_space:  global
        .offset:         0
        .size:           8
        .value_kind:     global_buffer
      - .address_space:  global
        .offset:         8
        .size:           8
        .value_kind:     global_buffer
    .group_segment_fixed_size: 0
    .kernarg_segment_align: 8
    .kernarg_segment_size: 16
    .language:       OpenCL C
    .language_version:
      - 2
      - 0
    .max_flat_workgroup_size: 64
    .name:           _Z18warp_reduce_kernelIhLj37ELj100EENSt9enable_ifIXntsr15benchmark_utilsE35device_test_enabled_for_warp_size_vIXT0_EEEvE4typeEPKT_PS3_
    .private_segment_fixed_size: 0
    .sgpr_count:     0
    .sgpr_spill_count: 0
    .symbol:         _Z18warp_reduce_kernelIhLj37ELj100EENSt9enable_ifIXntsr15benchmark_utilsE35device_test_enabled_for_warp_size_vIXT0_EEEvE4typeEPKT_PS3_.kd
    .uniform_work_group_size: 1
    .uses_dynamic_stack: false
    .vgpr_count:     0
    .vgpr_spill_count: 0
    .wavefront_size: 32
    .workgroup_processor_mode: 1
  - .args:
      - .address_space:  global
        .offset:         0
        .size:           8
        .value_kind:     global_buffer
      - .address_space:  global
        .offset:         8
        .size:           8
        .value_kind:     global_buffer
    .group_segment_fixed_size: 0
    .kernarg_segment_align: 8
    .kernarg_segment_size: 16
    .language:       OpenCL C
    .language_version:
      - 2
      - 0
    .max_flat_workgroup_size: 64
    .name:           _Z18warp_reduce_kernelIhLj61ELj100EENSt9enable_ifIXntsr15benchmark_utilsE35device_test_enabled_for_warp_size_vIXT0_EEEvE4typeEPKT_PS3_
    .private_segment_fixed_size: 0
    .sgpr_count:     0
    .sgpr_spill_count: 0
    .symbol:         _Z18warp_reduce_kernelIhLj61ELj100EENSt9enable_ifIXntsr15benchmark_utilsE35device_test_enabled_for_warp_size_vIXT0_EEEvE4typeEPKT_PS3_.kd
    .uniform_work_group_size: 1
    .uses_dynamic_stack: false
    .vgpr_count:     0
    .vgpr_spill_count: 0
    .wavefront_size: 32
    .workgroup_processor_mode: 1
  - .args:
      - .address_space:  global
        .offset:         0
        .size:           8
        .value_kind:     global_buffer
      - .address_space:  global
        .offset:         8
        .size:           8
        .value_kind:     global_buffer
    .group_segment_fixed_size: 0
    .kernarg_segment_align: 8
    .kernarg_segment_size: 16
    .language:       OpenCL C
    .language_version:
      - 2
      - 0
    .max_flat_workgroup_size: 64
    .name:           _Z18warp_reduce_kernelIhLj64ELj100EENSt9enable_ifIXntsr15benchmark_utilsE35device_test_enabled_for_warp_size_vIXT0_EEEvE4typeEPKT_PS3_
    .private_segment_fixed_size: 0
    .sgpr_count:     0
    .sgpr_spill_count: 0
    .symbol:         _Z18warp_reduce_kernelIhLj64ELj100EENSt9enable_ifIXntsr15benchmark_utilsE35device_test_enabled_for_warp_size_vIXT0_EEEvE4typeEPKT_PS3_.kd
    .uniform_work_group_size: 1
    .uses_dynamic_stack: false
    .vgpr_count:     0
    .vgpr_spill_count: 0
    .wavefront_size: 32
    .workgroup_processor_mode: 1
  - .args:
      - .address_space:  global
        .offset:         0
        .size:           8
        .value_kind:     global_buffer
      - .address_space:  global
        .offset:         8
        .size:           8
        .value_kind:     global_buffer
      - .address_space:  global
        .offset:         16
        .size:           8
        .value_kind:     global_buffer
      - .offset:         24
        .size:           4
        .value_kind:     hidden_block_count_x
      - .offset:         28
        .size:           4
        .value_kind:     hidden_block_count_y
      - .offset:         32
        .size:           4
        .value_kind:     hidden_block_count_z
      - .offset:         36
        .size:           2
        .value_kind:     hidden_group_size_x
      - .offset:         38
        .size:           2
        .value_kind:     hidden_group_size_y
      - .offset:         40
        .size:           2
        .value_kind:     hidden_group_size_z
      - .offset:         42
        .size:           2
        .value_kind:     hidden_remainder_x
      - .offset:         44
        .size:           2
        .value_kind:     hidden_remainder_y
      - .offset:         46
        .size:           2
        .value_kind:     hidden_remainder_z
      - .offset:         64
        .size:           8
        .value_kind:     hidden_global_offset_x
      - .offset:         72
        .size:           8
        .value_kind:     hidden_global_offset_y
      - .offset:         80
        .size:           8
        .value_kind:     hidden_global_offset_z
      - .offset:         88
        .size:           2
        .value_kind:     hidden_grid_dims
    .group_segment_fixed_size: 60
    .kernarg_segment_align: 8
    .kernarg_segment_size: 280
    .language:       OpenCL C
    .language_version:
      - 2
      - 0
    .max_flat_workgroup_size: 64
    .name:           _Z28segmented_warp_reduce_kernelIihLj15ELj100EENSt9enable_ifIXsr15benchmark_utilsE35device_test_enabled_for_warp_size_vIXT1_EEEvE4typeEPKT_PT0_PS3_
    .private_segment_fixed_size: 0
    .sgpr_count:     18
    .sgpr_spill_count: 0
    .symbol:         _Z28segmented_warp_reduce_kernelIihLj15ELj100EENSt9enable_ifIXsr15benchmark_utilsE35device_test_enabled_for_warp_size_vIXT1_EEEvE4typeEPKT_PT0_PS3_.kd
    .uniform_work_group_size: 1
    .uses_dynamic_stack: false
    .vgpr_count:     13
    .vgpr_spill_count: 0
    .wavefront_size: 32
    .workgroup_processor_mode: 1
  - .args:
      - .address_space:  global
        .offset:         0
        .size:           8
        .value_kind:     global_buffer
      - .address_space:  global
        .offset:         8
        .size:           8
        .value_kind:     global_buffer
      - .address_space:  global
        .offset:         16
        .size:           8
        .value_kind:     global_buffer
      - .offset:         24
        .size:           4
        .value_kind:     hidden_block_count_x
      - .offset:         28
        .size:           4
        .value_kind:     hidden_block_count_y
      - .offset:         32
        .size:           4
        .value_kind:     hidden_block_count_z
      - .offset:         36
        .size:           2
        .value_kind:     hidden_group_size_x
      - .offset:         38
        .size:           2
        .value_kind:     hidden_group_size_y
      - .offset:         40
        .size:           2
        .value_kind:     hidden_group_size_z
      - .offset:         42
        .size:           2
        .value_kind:     hidden_remainder_x
      - .offset:         44
        .size:           2
        .value_kind:     hidden_remainder_y
      - .offset:         46
        .size:           2
        .value_kind:     hidden_remainder_z
      - .offset:         64
        .size:           8
        .value_kind:     hidden_global_offset_x
      - .offset:         72
        .size:           8
        .value_kind:     hidden_global_offset_y
      - .offset:         80
        .size:           8
        .value_kind:     hidden_global_offset_z
      - .offset:         88
        .size:           2
        .value_kind:     hidden_grid_dims
    .group_segment_fixed_size: 0
    .kernarg_segment_align: 8
    .kernarg_segment_size: 280
    .language:       OpenCL C
    .language_version:
      - 2
      - 0
    .max_flat_workgroup_size: 64
    .name:           _Z28segmented_warp_reduce_kernelIihLj16ELj100EENSt9enable_ifIXsr15benchmark_utilsE35device_test_enabled_for_warp_size_vIXT1_EEEvE4typeEPKT_PT0_PS3_
    .private_segment_fixed_size: 0
    .sgpr_count:     18
    .sgpr_spill_count: 0
    .symbol:         _Z28segmented_warp_reduce_kernelIihLj16ELj100EENSt9enable_ifIXsr15benchmark_utilsE35device_test_enabled_for_warp_size_vIXT1_EEEvE4typeEPKT_PT0_PS3_.kd
    .uniform_work_group_size: 1
    .uses_dynamic_stack: false
    .vgpr_count:     15
    .vgpr_spill_count: 0
    .wavefront_size: 32
    .workgroup_processor_mode: 1
  - .args:
      - .address_space:  global
        .offset:         0
        .size:           8
        .value_kind:     global_buffer
      - .address_space:  global
        .offset:         8
        .size:           8
        .value_kind:     global_buffer
      - .address_space:  global
        .offset:         16
        .size:           8
        .value_kind:     global_buffer
      - .offset:         24
        .size:           4
        .value_kind:     hidden_block_count_x
      - .offset:         28
        .size:           4
        .value_kind:     hidden_block_count_y
      - .offset:         32
        .size:           4
        .value_kind:     hidden_block_count_z
      - .offset:         36
        .size:           2
        .value_kind:     hidden_group_size_x
      - .offset:         38
        .size:           2
        .value_kind:     hidden_group_size_y
      - .offset:         40
        .size:           2
        .value_kind:     hidden_group_size_z
      - .offset:         42
        .size:           2
        .value_kind:     hidden_remainder_x
      - .offset:         44
        .size:           2
        .value_kind:     hidden_remainder_y
      - .offset:         46
        .size:           2
        .value_kind:     hidden_remainder_z
      - .offset:         64
        .size:           8
        .value_kind:     hidden_global_offset_x
      - .offset:         72
        .size:           8
        .value_kind:     hidden_global_offset_y
      - .offset:         80
        .size:           8
        .value_kind:     hidden_global_offset_z
      - .offset:         88
        .size:           2
        .value_kind:     hidden_grid_dims
    .group_segment_fixed_size: 124
    .kernarg_segment_align: 8
    .kernarg_segment_size: 280
    .language:       OpenCL C
    .language_version:
      - 2
      - 0
    .max_flat_workgroup_size: 64
    .name:           _Z28segmented_warp_reduce_kernelIihLj31ELj100EENSt9enable_ifIXsr15benchmark_utilsE35device_test_enabled_for_warp_size_vIXT1_EEEvE4typeEPKT_PT0_PS3_
    .private_segment_fixed_size: 0
    .sgpr_count:     18
    .sgpr_spill_count: 0
    .symbol:         _Z28segmented_warp_reduce_kernelIihLj31ELj100EENSt9enable_ifIXsr15benchmark_utilsE35device_test_enabled_for_warp_size_vIXT1_EEEvE4typeEPKT_PT0_PS3_.kd
    .uniform_work_group_size: 1
    .uses_dynamic_stack: false
    .vgpr_count:     14
    .vgpr_spill_count: 0
    .wavefront_size: 32
    .workgroup_processor_mode: 1
  - .args:
      - .address_space:  global
        .offset:         0
        .size:           8
        .value_kind:     global_buffer
      - .address_space:  global
        .offset:         8
        .size:           8
        .value_kind:     global_buffer
      - .address_space:  global
        .offset:         16
        .size:           8
        .value_kind:     global_buffer
      - .offset:         24
        .size:           4
        .value_kind:     hidden_block_count_x
      - .offset:         28
        .size:           4
        .value_kind:     hidden_block_count_y
      - .offset:         32
        .size:           4
        .value_kind:     hidden_block_count_z
      - .offset:         36
        .size:           2
        .value_kind:     hidden_group_size_x
      - .offset:         38
        .size:           2
        .value_kind:     hidden_group_size_y
      - .offset:         40
        .size:           2
        .value_kind:     hidden_group_size_z
      - .offset:         42
        .size:           2
        .value_kind:     hidden_remainder_x
      - .offset:         44
        .size:           2
        .value_kind:     hidden_remainder_y
      - .offset:         46
        .size:           2
        .value_kind:     hidden_remainder_z
      - .offset:         64
        .size:           8
        .value_kind:     hidden_global_offset_x
      - .offset:         72
        .size:           8
        .value_kind:     hidden_global_offset_y
      - .offset:         80
        .size:           8
        .value_kind:     hidden_global_offset_z
      - .offset:         88
        .size:           2
        .value_kind:     hidden_grid_dims
    .group_segment_fixed_size: 0
    .kernarg_segment_align: 8
    .kernarg_segment_size: 280
    .language:       OpenCL C
    .language_version:
      - 2
      - 0
    .max_flat_workgroup_size: 64
    .name:           _Z28segmented_warp_reduce_kernelIihLj32ELj100EENSt9enable_ifIXsr15benchmark_utilsE35device_test_enabled_for_warp_size_vIXT1_EEEvE4typeEPKT_PT0_PS3_
    .private_segment_fixed_size: 0
    .sgpr_count:     18
    .sgpr_spill_count: 0
    .symbol:         _Z28segmented_warp_reduce_kernelIihLj32ELj100EENSt9enable_ifIXsr15benchmark_utilsE35device_test_enabled_for_warp_size_vIXT1_EEEvE4typeEPKT_PT0_PS3_.kd
    .uniform_work_group_size: 1
    .uses_dynamic_stack: false
    .vgpr_count:     17
    .vgpr_spill_count: 0
    .wavefront_size: 32
    .workgroup_processor_mode: 1
  - .args:
      - .address_space:  global
        .offset:         0
        .size:           8
        .value_kind:     global_buffer
      - .address_space:  global
        .offset:         8
        .size:           8
        .value_kind:     global_buffer
      - .address_space:  global
        .offset:         16
        .size:           8
        .value_kind:     global_buffer
    .group_segment_fixed_size: 0
    .kernarg_segment_align: 8
    .kernarg_segment_size: 24
    .language:       OpenCL C
    .language_version:
      - 2
      - 0
    .max_flat_workgroup_size: 64
    .name:           _Z28segmented_warp_reduce_kernelIihLj37ELj100EENSt9enable_ifIXntsr15benchmark_utilsE35device_test_enabled_for_warp_size_vIXT1_EEEvE4typeEPKT_PT0_PS3_
    .private_segment_fixed_size: 0
    .sgpr_count:     0
    .sgpr_spill_count: 0
    .symbol:         _Z28segmented_warp_reduce_kernelIihLj37ELj100EENSt9enable_ifIXntsr15benchmark_utilsE35device_test_enabled_for_warp_size_vIXT1_EEEvE4typeEPKT_PT0_PS3_.kd
    .uniform_work_group_size: 1
    .uses_dynamic_stack: false
    .vgpr_count:     0
    .vgpr_spill_count: 0
    .wavefront_size: 32
    .workgroup_processor_mode: 1
  - .args:
      - .address_space:  global
        .offset:         0
        .size:           8
        .value_kind:     global_buffer
      - .address_space:  global
        .offset:         8
        .size:           8
        .value_kind:     global_buffer
      - .address_space:  global
        .offset:         16
        .size:           8
        .value_kind:     global_buffer
    .group_segment_fixed_size: 0
    .kernarg_segment_align: 8
    .kernarg_segment_size: 24
    .language:       OpenCL C
    .language_version:
      - 2
      - 0
    .max_flat_workgroup_size: 64
    .name:           _Z28segmented_warp_reduce_kernelIihLj61ELj100EENSt9enable_ifIXntsr15benchmark_utilsE35device_test_enabled_for_warp_size_vIXT1_EEEvE4typeEPKT_PT0_PS3_
    .private_segment_fixed_size: 0
    .sgpr_count:     0
    .sgpr_spill_count: 0
    .symbol:         _Z28segmented_warp_reduce_kernelIihLj61ELj100EENSt9enable_ifIXntsr15benchmark_utilsE35device_test_enabled_for_warp_size_vIXT1_EEEvE4typeEPKT_PT0_PS3_.kd
    .uniform_work_group_size: 1
    .uses_dynamic_stack: false
    .vgpr_count:     0
    .vgpr_spill_count: 0
    .wavefront_size: 32
    .workgroup_processor_mode: 1
  - .args:
      - .address_space:  global
        .offset:         0
        .size:           8
        .value_kind:     global_buffer
      - .address_space:  global
        .offset:         8
        .size:           8
        .value_kind:     global_buffer
      - .address_space:  global
        .offset:         16
        .size:           8
        .value_kind:     global_buffer
    .group_segment_fixed_size: 0
    .kernarg_segment_align: 8
    .kernarg_segment_size: 24
    .language:       OpenCL C
    .language_version:
      - 2
      - 0
    .max_flat_workgroup_size: 64
    .name:           _Z28segmented_warp_reduce_kernelIihLj64ELj100EENSt9enable_ifIXntsr15benchmark_utilsE35device_test_enabled_for_warp_size_vIXT1_EEEvE4typeEPKT_PT0_PS3_
    .private_segment_fixed_size: 0
    .sgpr_count:     0
    .sgpr_spill_count: 0
    .symbol:         _Z28segmented_warp_reduce_kernelIihLj64ELj100EENSt9enable_ifIXntsr15benchmark_utilsE35device_test_enabled_for_warp_size_vIXT1_EEEvE4typeEPKT_PT0_PS3_.kd
    .uniform_work_group_size: 1
    .uses_dynamic_stack: false
    .vgpr_count:     0
    .vgpr_spill_count: 0
    .wavefront_size: 32
    .workgroup_processor_mode: 1
  - .args:
      - .address_space:  global
        .offset:         0
        .size:           8
        .value_kind:     global_buffer
      - .address_space:  global
        .offset:         8
        .size:           8
        .value_kind:     global_buffer
      - .address_space:  global
        .offset:         16
        .size:           8
        .value_kind:     global_buffer
      - .offset:         24
        .size:           4
        .value_kind:     hidden_block_count_x
      - .offset:         28
        .size:           4
        .value_kind:     hidden_block_count_y
      - .offset:         32
        .size:           4
        .value_kind:     hidden_block_count_z
      - .offset:         36
        .size:           2
        .value_kind:     hidden_group_size_x
      - .offset:         38
        .size:           2
        .value_kind:     hidden_group_size_y
      - .offset:         40
        .size:           2
        .value_kind:     hidden_group_size_z
      - .offset:         42
        .size:           2
        .value_kind:     hidden_remainder_x
      - .offset:         44
        .size:           2
        .value_kind:     hidden_remainder_y
      - .offset:         46
        .size:           2
        .value_kind:     hidden_remainder_z
      - .offset:         64
        .size:           8
        .value_kind:     hidden_global_offset_x
      - .offset:         72
        .size:           8
        .value_kind:     hidden_global_offset_y
      - .offset:         80
        .size:           8
        .value_kind:     hidden_global_offset_z
      - .offset:         88
        .size:           2
        .value_kind:     hidden_grid_dims
    .group_segment_fixed_size: 60
    .kernarg_segment_align: 8
    .kernarg_segment_size: 280
    .language:       OpenCL C
    .language_version:
      - 2
      - 0
    .max_flat_workgroup_size: 64
    .name:           _Z28segmented_warp_reduce_kernelIfhLj15ELj100EENSt9enable_ifIXsr15benchmark_utilsE35device_test_enabled_for_warp_size_vIXT1_EEEvE4typeEPKT_PT0_PS3_
    .private_segment_fixed_size: 0
    .sgpr_count:     18
    .sgpr_spill_count: 0
    .symbol:         _Z28segmented_warp_reduce_kernelIfhLj15ELj100EENSt9enable_ifIXsr15benchmark_utilsE35device_test_enabled_for_warp_size_vIXT1_EEEvE4typeEPKT_PT0_PS3_.kd
    .uniform_work_group_size: 1
    .uses_dynamic_stack: false
    .vgpr_count:     13
    .vgpr_spill_count: 0
    .wavefront_size: 32
    .workgroup_processor_mode: 1
  - .args:
      - .address_space:  global
        .offset:         0
        .size:           8
        .value_kind:     global_buffer
      - .address_space:  global
        .offset:         8
        .size:           8
        .value_kind:     global_buffer
      - .address_space:  global
        .offset:         16
        .size:           8
        .value_kind:     global_buffer
      - .offset:         24
        .size:           4
        .value_kind:     hidden_block_count_x
      - .offset:         28
        .size:           4
        .value_kind:     hidden_block_count_y
      - .offset:         32
        .size:           4
        .value_kind:     hidden_block_count_z
      - .offset:         36
        .size:           2
        .value_kind:     hidden_group_size_x
      - .offset:         38
        .size:           2
        .value_kind:     hidden_group_size_y
      - .offset:         40
        .size:           2
        .value_kind:     hidden_group_size_z
      - .offset:         42
        .size:           2
        .value_kind:     hidden_remainder_x
      - .offset:         44
        .size:           2
        .value_kind:     hidden_remainder_y
      - .offset:         46
        .size:           2
        .value_kind:     hidden_remainder_z
      - .offset:         64
        .size:           8
        .value_kind:     hidden_global_offset_x
      - .offset:         72
        .size:           8
        .value_kind:     hidden_global_offset_y
      - .offset:         80
        .size:           8
        .value_kind:     hidden_global_offset_z
      - .offset:         88
        .size:           2
        .value_kind:     hidden_grid_dims
    .group_segment_fixed_size: 0
    .kernarg_segment_align: 8
    .kernarg_segment_size: 280
    .language:       OpenCL C
    .language_version:
      - 2
      - 0
    .max_flat_workgroup_size: 64
    .name:           _Z28segmented_warp_reduce_kernelIfhLj16ELj100EENSt9enable_ifIXsr15benchmark_utilsE35device_test_enabled_for_warp_size_vIXT1_EEEvE4typeEPKT_PT0_PS3_
    .private_segment_fixed_size: 0
    .sgpr_count:     18
    .sgpr_spill_count: 0
    .symbol:         _Z28segmented_warp_reduce_kernelIfhLj16ELj100EENSt9enable_ifIXsr15benchmark_utilsE35device_test_enabled_for_warp_size_vIXT1_EEEvE4typeEPKT_PT0_PS3_.kd
    .uniform_work_group_size: 1
    .uses_dynamic_stack: false
    .vgpr_count:     15
    .vgpr_spill_count: 0
    .wavefront_size: 32
    .workgroup_processor_mode: 1
  - .args:
      - .address_space:  global
        .offset:         0
        .size:           8
        .value_kind:     global_buffer
      - .address_space:  global
        .offset:         8
        .size:           8
        .value_kind:     global_buffer
      - .address_space:  global
        .offset:         16
        .size:           8
        .value_kind:     global_buffer
      - .offset:         24
        .size:           4
        .value_kind:     hidden_block_count_x
      - .offset:         28
        .size:           4
        .value_kind:     hidden_block_count_y
      - .offset:         32
        .size:           4
        .value_kind:     hidden_block_count_z
      - .offset:         36
        .size:           2
        .value_kind:     hidden_group_size_x
      - .offset:         38
        .size:           2
        .value_kind:     hidden_group_size_y
      - .offset:         40
        .size:           2
        .value_kind:     hidden_group_size_z
      - .offset:         42
        .size:           2
        .value_kind:     hidden_remainder_x
      - .offset:         44
        .size:           2
        .value_kind:     hidden_remainder_y
      - .offset:         46
        .size:           2
        .value_kind:     hidden_remainder_z
      - .offset:         64
        .size:           8
        .value_kind:     hidden_global_offset_x
      - .offset:         72
        .size:           8
        .value_kind:     hidden_global_offset_y
      - .offset:         80
        .size:           8
        .value_kind:     hidden_global_offset_z
      - .offset:         88
        .size:           2
        .value_kind:     hidden_grid_dims
    .group_segment_fixed_size: 124
    .kernarg_segment_align: 8
    .kernarg_segment_size: 280
    .language:       OpenCL C
    .language_version:
      - 2
      - 0
    .max_flat_workgroup_size: 64
    .name:           _Z28segmented_warp_reduce_kernelIfhLj31ELj100EENSt9enable_ifIXsr15benchmark_utilsE35device_test_enabled_for_warp_size_vIXT1_EEEvE4typeEPKT_PT0_PS3_
    .private_segment_fixed_size: 0
    .sgpr_count:     18
    .sgpr_spill_count: 0
    .symbol:         _Z28segmented_warp_reduce_kernelIfhLj31ELj100EENSt9enable_ifIXsr15benchmark_utilsE35device_test_enabled_for_warp_size_vIXT1_EEEvE4typeEPKT_PT0_PS3_.kd
    .uniform_work_group_size: 1
    .uses_dynamic_stack: false
    .vgpr_count:     14
    .vgpr_spill_count: 0
    .wavefront_size: 32
    .workgroup_processor_mode: 1
  - .args:
      - .address_space:  global
        .offset:         0
        .size:           8
        .value_kind:     global_buffer
      - .address_space:  global
        .offset:         8
        .size:           8
        .value_kind:     global_buffer
      - .address_space:  global
        .offset:         16
        .size:           8
        .value_kind:     global_buffer
      - .offset:         24
        .size:           4
        .value_kind:     hidden_block_count_x
      - .offset:         28
        .size:           4
        .value_kind:     hidden_block_count_y
      - .offset:         32
        .size:           4
        .value_kind:     hidden_block_count_z
      - .offset:         36
        .size:           2
        .value_kind:     hidden_group_size_x
      - .offset:         38
        .size:           2
        .value_kind:     hidden_group_size_y
      - .offset:         40
        .size:           2
        .value_kind:     hidden_group_size_z
      - .offset:         42
        .size:           2
        .value_kind:     hidden_remainder_x
      - .offset:         44
        .size:           2
        .value_kind:     hidden_remainder_y
      - .offset:         46
        .size:           2
        .value_kind:     hidden_remainder_z
      - .offset:         64
        .size:           8
        .value_kind:     hidden_global_offset_x
      - .offset:         72
        .size:           8
        .value_kind:     hidden_global_offset_y
      - .offset:         80
        .size:           8
        .value_kind:     hidden_global_offset_z
      - .offset:         88
        .size:           2
        .value_kind:     hidden_grid_dims
    .group_segment_fixed_size: 0
    .kernarg_segment_align: 8
    .kernarg_segment_size: 280
    .language:       OpenCL C
    .language_version:
      - 2
      - 0
    .max_flat_workgroup_size: 64
    .name:           _Z28segmented_warp_reduce_kernelIfhLj32ELj100EENSt9enable_ifIXsr15benchmark_utilsE35device_test_enabled_for_warp_size_vIXT1_EEEvE4typeEPKT_PT0_PS3_
    .private_segment_fixed_size: 0
    .sgpr_count:     18
    .sgpr_spill_count: 0
    .symbol:         _Z28segmented_warp_reduce_kernelIfhLj32ELj100EENSt9enable_ifIXsr15benchmark_utilsE35device_test_enabled_for_warp_size_vIXT1_EEEvE4typeEPKT_PT0_PS3_.kd
    .uniform_work_group_size: 1
    .uses_dynamic_stack: false
    .vgpr_count:     17
    .vgpr_spill_count: 0
    .wavefront_size: 32
    .workgroup_processor_mode: 1
  - .args:
      - .address_space:  global
        .offset:         0
        .size:           8
        .value_kind:     global_buffer
      - .address_space:  global
        .offset:         8
        .size:           8
        .value_kind:     global_buffer
      - .address_space:  global
        .offset:         16
        .size:           8
        .value_kind:     global_buffer
    .group_segment_fixed_size: 0
    .kernarg_segment_align: 8
    .kernarg_segment_size: 24
    .language:       OpenCL C
    .language_version:
      - 2
      - 0
    .max_flat_workgroup_size: 64
    .name:           _Z28segmented_warp_reduce_kernelIfhLj37ELj100EENSt9enable_ifIXntsr15benchmark_utilsE35device_test_enabled_for_warp_size_vIXT1_EEEvE4typeEPKT_PT0_PS3_
    .private_segment_fixed_size: 0
    .sgpr_count:     0
    .sgpr_spill_count: 0
    .symbol:         _Z28segmented_warp_reduce_kernelIfhLj37ELj100EENSt9enable_ifIXntsr15benchmark_utilsE35device_test_enabled_for_warp_size_vIXT1_EEEvE4typeEPKT_PT0_PS3_.kd
    .uniform_work_group_size: 1
    .uses_dynamic_stack: false
    .vgpr_count:     0
    .vgpr_spill_count: 0
    .wavefront_size: 32
    .workgroup_processor_mode: 1
  - .args:
      - .address_space:  global
        .offset:         0
        .size:           8
        .value_kind:     global_buffer
      - .address_space:  global
        .offset:         8
        .size:           8
        .value_kind:     global_buffer
      - .address_space:  global
        .offset:         16
        .size:           8
        .value_kind:     global_buffer
    .group_segment_fixed_size: 0
    .kernarg_segment_align: 8
    .kernarg_segment_size: 24
    .language:       OpenCL C
    .language_version:
      - 2
      - 0
    .max_flat_workgroup_size: 64
    .name:           _Z28segmented_warp_reduce_kernelIfhLj61ELj100EENSt9enable_ifIXntsr15benchmark_utilsE35device_test_enabled_for_warp_size_vIXT1_EEEvE4typeEPKT_PT0_PS3_
    .private_segment_fixed_size: 0
    .sgpr_count:     0
    .sgpr_spill_count: 0
    .symbol:         _Z28segmented_warp_reduce_kernelIfhLj61ELj100EENSt9enable_ifIXntsr15benchmark_utilsE35device_test_enabled_for_warp_size_vIXT1_EEEvE4typeEPKT_PT0_PS3_.kd
    .uniform_work_group_size: 1
    .uses_dynamic_stack: false
    .vgpr_count:     0
    .vgpr_spill_count: 0
    .wavefront_size: 32
    .workgroup_processor_mode: 1
  - .args:
      - .address_space:  global
        .offset:         0
        .size:           8
        .value_kind:     global_buffer
      - .address_space:  global
        .offset:         8
        .size:           8
        .value_kind:     global_buffer
      - .address_space:  global
        .offset:         16
        .size:           8
        .value_kind:     global_buffer
    .group_segment_fixed_size: 0
    .kernarg_segment_align: 8
    .kernarg_segment_size: 24
    .language:       OpenCL C
    .language_version:
      - 2
      - 0
    .max_flat_workgroup_size: 64
    .name:           _Z28segmented_warp_reduce_kernelIfhLj64ELj100EENSt9enable_ifIXntsr15benchmark_utilsE35device_test_enabled_for_warp_size_vIXT1_EEEvE4typeEPKT_PT0_PS3_
    .private_segment_fixed_size: 0
    .sgpr_count:     0
    .sgpr_spill_count: 0
    .symbol:         _Z28segmented_warp_reduce_kernelIfhLj64ELj100EENSt9enable_ifIXntsr15benchmark_utilsE35device_test_enabled_for_warp_size_vIXT1_EEEvE4typeEPKT_PT0_PS3_.kd
    .uniform_work_group_size: 1
    .uses_dynamic_stack: false
    .vgpr_count:     0
    .vgpr_spill_count: 0
    .wavefront_size: 32
    .workgroup_processor_mode: 1
  - .args:
      - .address_space:  global
        .offset:         0
        .size:           8
        .value_kind:     global_buffer
      - .address_space:  global
        .offset:         8
        .size:           8
        .value_kind:     global_buffer
      - .address_space:  global
        .offset:         16
        .size:           8
        .value_kind:     global_buffer
      - .offset:         24
        .size:           4
        .value_kind:     hidden_block_count_x
      - .offset:         28
        .size:           4
        .value_kind:     hidden_block_count_y
      - .offset:         32
        .size:           4
        .value_kind:     hidden_block_count_z
      - .offset:         36
        .size:           2
        .value_kind:     hidden_group_size_x
      - .offset:         38
        .size:           2
        .value_kind:     hidden_group_size_y
      - .offset:         40
        .size:           2
        .value_kind:     hidden_group_size_z
      - .offset:         42
        .size:           2
        .value_kind:     hidden_remainder_x
      - .offset:         44
        .size:           2
        .value_kind:     hidden_remainder_y
      - .offset:         46
        .size:           2
        .value_kind:     hidden_remainder_z
      - .offset:         64
        .size:           8
        .value_kind:     hidden_global_offset_x
      - .offset:         72
        .size:           8
        .value_kind:     hidden_global_offset_y
      - .offset:         80
        .size:           8
        .value_kind:     hidden_global_offset_z
      - .offset:         88
        .size:           2
        .value_kind:     hidden_grid_dims
    .group_segment_fixed_size: 120
    .kernarg_segment_align: 8
    .kernarg_segment_size: 280
    .language:       OpenCL C
    .language_version:
      - 2
      - 0
    .max_flat_workgroup_size: 64
    .name:           _Z28segmented_warp_reduce_kernelIdhLj15ELj100EENSt9enable_ifIXsr15benchmark_utilsE35device_test_enabled_for_warp_size_vIXT1_EEEvE4typeEPKT_PT0_PS3_
    .private_segment_fixed_size: 0
    .sgpr_count:     18
    .sgpr_spill_count: 0
    .symbol:         _Z28segmented_warp_reduce_kernelIdhLj15ELj100EENSt9enable_ifIXsr15benchmark_utilsE35device_test_enabled_for_warp_size_vIXT1_EEEvE4typeEPKT_PT0_PS3_.kd
    .uniform_work_group_size: 1
    .uses_dynamic_stack: false
    .vgpr_count:     15
    .vgpr_spill_count: 0
    .wavefront_size: 32
    .workgroup_processor_mode: 1
  - .args:
      - .address_space:  global
        .offset:         0
        .size:           8
        .value_kind:     global_buffer
      - .address_space:  global
        .offset:         8
        .size:           8
        .value_kind:     global_buffer
      - .address_space:  global
        .offset:         16
        .size:           8
        .value_kind:     global_buffer
      - .offset:         24
        .size:           4
        .value_kind:     hidden_block_count_x
      - .offset:         28
        .size:           4
        .value_kind:     hidden_block_count_y
      - .offset:         32
        .size:           4
        .value_kind:     hidden_block_count_z
      - .offset:         36
        .size:           2
        .value_kind:     hidden_group_size_x
      - .offset:         38
        .size:           2
        .value_kind:     hidden_group_size_y
      - .offset:         40
        .size:           2
        .value_kind:     hidden_group_size_z
      - .offset:         42
        .size:           2
        .value_kind:     hidden_remainder_x
      - .offset:         44
        .size:           2
        .value_kind:     hidden_remainder_y
      - .offset:         46
        .size:           2
        .value_kind:     hidden_remainder_z
      - .offset:         64
        .size:           8
        .value_kind:     hidden_global_offset_x
      - .offset:         72
        .size:           8
        .value_kind:     hidden_global_offset_y
      - .offset:         80
        .size:           8
        .value_kind:     hidden_global_offset_z
      - .offset:         88
        .size:           2
        .value_kind:     hidden_grid_dims
    .group_segment_fixed_size: 0
    .kernarg_segment_align: 8
    .kernarg_segment_size: 280
    .language:       OpenCL C
    .language_version:
      - 2
      - 0
    .max_flat_workgroup_size: 64
    .name:           _Z28segmented_warp_reduce_kernelIdhLj16ELj100EENSt9enable_ifIXsr15benchmark_utilsE35device_test_enabled_for_warp_size_vIXT1_EEEvE4typeEPKT_PT0_PS3_
    .private_segment_fixed_size: 0
    .sgpr_count:     18
    .sgpr_spill_count: 0
    .symbol:         _Z28segmented_warp_reduce_kernelIdhLj16ELj100EENSt9enable_ifIXsr15benchmark_utilsE35device_test_enabled_for_warp_size_vIXT1_EEEvE4typeEPKT_PT0_PS3_.kd
    .uniform_work_group_size: 1
    .uses_dynamic_stack: false
    .vgpr_count:     18
    .vgpr_spill_count: 0
    .wavefront_size: 32
    .workgroup_processor_mode: 1
  - .args:
      - .address_space:  global
        .offset:         0
        .size:           8
        .value_kind:     global_buffer
      - .address_space:  global
        .offset:         8
        .size:           8
        .value_kind:     global_buffer
      - .address_space:  global
        .offset:         16
        .size:           8
        .value_kind:     global_buffer
      - .offset:         24
        .size:           4
        .value_kind:     hidden_block_count_x
      - .offset:         28
        .size:           4
        .value_kind:     hidden_block_count_y
      - .offset:         32
        .size:           4
        .value_kind:     hidden_block_count_z
      - .offset:         36
        .size:           2
        .value_kind:     hidden_group_size_x
      - .offset:         38
        .size:           2
        .value_kind:     hidden_group_size_y
      - .offset:         40
        .size:           2
        .value_kind:     hidden_group_size_z
      - .offset:         42
        .size:           2
        .value_kind:     hidden_remainder_x
      - .offset:         44
        .size:           2
        .value_kind:     hidden_remainder_y
      - .offset:         46
        .size:           2
        .value_kind:     hidden_remainder_z
      - .offset:         64
        .size:           8
        .value_kind:     hidden_global_offset_x
      - .offset:         72
        .size:           8
        .value_kind:     hidden_global_offset_y
      - .offset:         80
        .size:           8
        .value_kind:     hidden_global_offset_z
      - .offset:         88
        .size:           2
        .value_kind:     hidden_grid_dims
    .group_segment_fixed_size: 248
    .kernarg_segment_align: 8
    .kernarg_segment_size: 280
    .language:       OpenCL C
    .language_version:
      - 2
      - 0
    .max_flat_workgroup_size: 64
    .name:           _Z28segmented_warp_reduce_kernelIdhLj31ELj100EENSt9enable_ifIXsr15benchmark_utilsE35device_test_enabled_for_warp_size_vIXT1_EEEvE4typeEPKT_PT0_PS3_
    .private_segment_fixed_size: 0
    .sgpr_count:     18
    .sgpr_spill_count: 0
    .symbol:         _Z28segmented_warp_reduce_kernelIdhLj31ELj100EENSt9enable_ifIXsr15benchmark_utilsE35device_test_enabled_for_warp_size_vIXT1_EEEvE4typeEPKT_PT0_PS3_.kd
    .uniform_work_group_size: 1
    .uses_dynamic_stack: false
    .vgpr_count:     16
    .vgpr_spill_count: 0
    .wavefront_size: 32
    .workgroup_processor_mode: 1
  - .args:
      - .address_space:  global
        .offset:         0
        .size:           8
        .value_kind:     global_buffer
      - .address_space:  global
        .offset:         8
        .size:           8
        .value_kind:     global_buffer
      - .address_space:  global
        .offset:         16
        .size:           8
        .value_kind:     global_buffer
      - .offset:         24
        .size:           4
        .value_kind:     hidden_block_count_x
      - .offset:         28
        .size:           4
        .value_kind:     hidden_block_count_y
      - .offset:         32
        .size:           4
        .value_kind:     hidden_block_count_z
      - .offset:         36
        .size:           2
        .value_kind:     hidden_group_size_x
      - .offset:         38
        .size:           2
        .value_kind:     hidden_group_size_y
      - .offset:         40
        .size:           2
        .value_kind:     hidden_group_size_z
      - .offset:         42
        .size:           2
        .value_kind:     hidden_remainder_x
      - .offset:         44
        .size:           2
        .value_kind:     hidden_remainder_y
      - .offset:         46
        .size:           2
        .value_kind:     hidden_remainder_z
      - .offset:         64
        .size:           8
        .value_kind:     hidden_global_offset_x
      - .offset:         72
        .size:           8
        .value_kind:     hidden_global_offset_y
      - .offset:         80
        .size:           8
        .value_kind:     hidden_global_offset_z
      - .offset:         88
        .size:           2
        .value_kind:     hidden_grid_dims
    .group_segment_fixed_size: 0
    .kernarg_segment_align: 8
    .kernarg_segment_size: 280
    .language:       OpenCL C
    .language_version:
      - 2
      - 0
    .max_flat_workgroup_size: 64
    .name:           _Z28segmented_warp_reduce_kernelIdhLj32ELj100EENSt9enable_ifIXsr15benchmark_utilsE35device_test_enabled_for_warp_size_vIXT1_EEEvE4typeEPKT_PT0_PS3_
    .private_segment_fixed_size: 0
    .sgpr_count:     18
    .sgpr_spill_count: 0
    .symbol:         _Z28segmented_warp_reduce_kernelIdhLj32ELj100EENSt9enable_ifIXsr15benchmark_utilsE35device_test_enabled_for_warp_size_vIXT1_EEEvE4typeEPKT_PT0_PS3_.kd
    .uniform_work_group_size: 1
    .uses_dynamic_stack: false
    .vgpr_count:     19
    .vgpr_spill_count: 0
    .wavefront_size: 32
    .workgroup_processor_mode: 1
  - .args:
      - .address_space:  global
        .offset:         0
        .size:           8
        .value_kind:     global_buffer
      - .address_space:  global
        .offset:         8
        .size:           8
        .value_kind:     global_buffer
      - .address_space:  global
        .offset:         16
        .size:           8
        .value_kind:     global_buffer
    .group_segment_fixed_size: 0
    .kernarg_segment_align: 8
    .kernarg_segment_size: 24
    .language:       OpenCL C
    .language_version:
      - 2
      - 0
    .max_flat_workgroup_size: 64
    .name:           _Z28segmented_warp_reduce_kernelIdhLj37ELj100EENSt9enable_ifIXntsr15benchmark_utilsE35device_test_enabled_for_warp_size_vIXT1_EEEvE4typeEPKT_PT0_PS3_
    .private_segment_fixed_size: 0
    .sgpr_count:     0
    .sgpr_spill_count: 0
    .symbol:         _Z28segmented_warp_reduce_kernelIdhLj37ELj100EENSt9enable_ifIXntsr15benchmark_utilsE35device_test_enabled_for_warp_size_vIXT1_EEEvE4typeEPKT_PT0_PS3_.kd
    .uniform_work_group_size: 1
    .uses_dynamic_stack: false
    .vgpr_count:     0
    .vgpr_spill_count: 0
    .wavefront_size: 32
    .workgroup_processor_mode: 1
  - .args:
      - .address_space:  global
        .offset:         0
        .size:           8
        .value_kind:     global_buffer
      - .address_space:  global
        .offset:         8
        .size:           8
        .value_kind:     global_buffer
      - .address_space:  global
        .offset:         16
        .size:           8
        .value_kind:     global_buffer
    .group_segment_fixed_size: 0
    .kernarg_segment_align: 8
    .kernarg_segment_size: 24
    .language:       OpenCL C
    .language_version:
      - 2
      - 0
    .max_flat_workgroup_size: 64
    .name:           _Z28segmented_warp_reduce_kernelIdhLj61ELj100EENSt9enable_ifIXntsr15benchmark_utilsE35device_test_enabled_for_warp_size_vIXT1_EEEvE4typeEPKT_PT0_PS3_
    .private_segment_fixed_size: 0
    .sgpr_count:     0
    .sgpr_spill_count: 0
    .symbol:         _Z28segmented_warp_reduce_kernelIdhLj61ELj100EENSt9enable_ifIXntsr15benchmark_utilsE35device_test_enabled_for_warp_size_vIXT1_EEEvE4typeEPKT_PT0_PS3_.kd
    .uniform_work_group_size: 1
    .uses_dynamic_stack: false
    .vgpr_count:     0
    .vgpr_spill_count: 0
    .wavefront_size: 32
    .workgroup_processor_mode: 1
  - .args:
      - .address_space:  global
        .offset:         0
        .size:           8
        .value_kind:     global_buffer
      - .address_space:  global
        .offset:         8
        .size:           8
        .value_kind:     global_buffer
      - .address_space:  global
        .offset:         16
        .size:           8
        .value_kind:     global_buffer
    .group_segment_fixed_size: 0
    .kernarg_segment_align: 8
    .kernarg_segment_size: 24
    .language:       OpenCL C
    .language_version:
      - 2
      - 0
    .max_flat_workgroup_size: 64
    .name:           _Z28segmented_warp_reduce_kernelIdhLj64ELj100EENSt9enable_ifIXntsr15benchmark_utilsE35device_test_enabled_for_warp_size_vIXT1_EEEvE4typeEPKT_PT0_PS3_
    .private_segment_fixed_size: 0
    .sgpr_count:     0
    .sgpr_spill_count: 0
    .symbol:         _Z28segmented_warp_reduce_kernelIdhLj64ELj100EENSt9enable_ifIXntsr15benchmark_utilsE35device_test_enabled_for_warp_size_vIXT1_EEEvE4typeEPKT_PT0_PS3_.kd
    .uniform_work_group_size: 1
    .uses_dynamic_stack: false
    .vgpr_count:     0
    .vgpr_spill_count: 0
    .wavefront_size: 32
    .workgroup_processor_mode: 1
  - .args:
      - .address_space:  global
        .offset:         0
        .size:           8
        .value_kind:     global_buffer
      - .address_space:  global
        .offset:         8
        .size:           8
        .value_kind:     global_buffer
      - .address_space:  global
        .offset:         16
        .size:           8
        .value_kind:     global_buffer
      - .offset:         24
        .size:           4
        .value_kind:     hidden_block_count_x
      - .offset:         28
        .size:           4
        .value_kind:     hidden_block_count_y
      - .offset:         32
        .size:           4
        .value_kind:     hidden_block_count_z
      - .offset:         36
        .size:           2
        .value_kind:     hidden_group_size_x
      - .offset:         38
        .size:           2
        .value_kind:     hidden_group_size_y
      - .offset:         40
        .size:           2
        .value_kind:     hidden_group_size_z
      - .offset:         42
        .size:           2
        .value_kind:     hidden_remainder_x
      - .offset:         44
        .size:           2
        .value_kind:     hidden_remainder_y
      - .offset:         46
        .size:           2
        .value_kind:     hidden_remainder_z
      - .offset:         64
        .size:           8
        .value_kind:     hidden_global_offset_x
      - .offset:         72
        .size:           8
        .value_kind:     hidden_global_offset_y
      - .offset:         80
        .size:           8
        .value_kind:     hidden_global_offset_z
      - .offset:         88
        .size:           2
        .value_kind:     hidden_grid_dims
    .group_segment_fixed_size: 15
    .kernarg_segment_align: 8
    .kernarg_segment_size: 280
    .language:       OpenCL C
    .language_version:
      - 2
      - 0
    .max_flat_workgroup_size: 64
    .name:           _Z28segmented_warp_reduce_kernelIahLj15ELj100EENSt9enable_ifIXsr15benchmark_utilsE35device_test_enabled_for_warp_size_vIXT1_EEEvE4typeEPKT_PT0_PS3_
    .private_segment_fixed_size: 0
    .sgpr_count:     18
    .sgpr_spill_count: 0
    .symbol:         _Z28segmented_warp_reduce_kernelIahLj15ELj100EENSt9enable_ifIXsr15benchmark_utilsE35device_test_enabled_for_warp_size_vIXT1_EEEvE4typeEPKT_PT0_PS3_.kd
    .uniform_work_group_size: 1
    .uses_dynamic_stack: false
    .vgpr_count:     11
    .vgpr_spill_count: 0
    .wavefront_size: 32
    .workgroup_processor_mode: 1
  - .args:
      - .address_space:  global
        .offset:         0
        .size:           8
        .value_kind:     global_buffer
      - .address_space:  global
        .offset:         8
        .size:           8
        .value_kind:     global_buffer
      - .address_space:  global
        .offset:         16
        .size:           8
        .value_kind:     global_buffer
      - .offset:         24
        .size:           4
        .value_kind:     hidden_block_count_x
      - .offset:         28
        .size:           4
        .value_kind:     hidden_block_count_y
      - .offset:         32
        .size:           4
        .value_kind:     hidden_block_count_z
      - .offset:         36
        .size:           2
        .value_kind:     hidden_group_size_x
      - .offset:         38
        .size:           2
        .value_kind:     hidden_group_size_y
      - .offset:         40
        .size:           2
        .value_kind:     hidden_group_size_z
      - .offset:         42
        .size:           2
        .value_kind:     hidden_remainder_x
      - .offset:         44
        .size:           2
        .value_kind:     hidden_remainder_y
      - .offset:         46
        .size:           2
        .value_kind:     hidden_remainder_z
      - .offset:         64
        .size:           8
        .value_kind:     hidden_global_offset_x
      - .offset:         72
        .size:           8
        .value_kind:     hidden_global_offset_y
      - .offset:         80
        .size:           8
        .value_kind:     hidden_global_offset_z
      - .offset:         88
        .size:           2
        .value_kind:     hidden_grid_dims
    .group_segment_fixed_size: 0
    .kernarg_segment_align: 8
    .kernarg_segment_size: 280
    .language:       OpenCL C
    .language_version:
      - 2
      - 0
    .max_flat_workgroup_size: 64
    .name:           _Z28segmented_warp_reduce_kernelIahLj16ELj100EENSt9enable_ifIXsr15benchmark_utilsE35device_test_enabled_for_warp_size_vIXT1_EEEvE4typeEPKT_PT0_PS3_
    .private_segment_fixed_size: 0
    .sgpr_count:     18
    .sgpr_spill_count: 0
    .symbol:         _Z28segmented_warp_reduce_kernelIahLj16ELj100EENSt9enable_ifIXsr15benchmark_utilsE35device_test_enabled_for_warp_size_vIXT1_EEEvE4typeEPKT_PT0_PS3_.kd
    .uniform_work_group_size: 1
    .uses_dynamic_stack: false
    .vgpr_count:     14
    .vgpr_spill_count: 0
    .wavefront_size: 32
    .workgroup_processor_mode: 1
  - .args:
      - .address_space:  global
        .offset:         0
        .size:           8
        .value_kind:     global_buffer
      - .address_space:  global
        .offset:         8
        .size:           8
        .value_kind:     global_buffer
      - .address_space:  global
        .offset:         16
        .size:           8
        .value_kind:     global_buffer
      - .offset:         24
        .size:           4
        .value_kind:     hidden_block_count_x
      - .offset:         28
        .size:           4
        .value_kind:     hidden_block_count_y
      - .offset:         32
        .size:           4
        .value_kind:     hidden_block_count_z
      - .offset:         36
        .size:           2
        .value_kind:     hidden_group_size_x
      - .offset:         38
        .size:           2
        .value_kind:     hidden_group_size_y
      - .offset:         40
        .size:           2
        .value_kind:     hidden_group_size_z
      - .offset:         42
        .size:           2
        .value_kind:     hidden_remainder_x
      - .offset:         44
        .size:           2
        .value_kind:     hidden_remainder_y
      - .offset:         46
        .size:           2
        .value_kind:     hidden_remainder_z
      - .offset:         64
        .size:           8
        .value_kind:     hidden_global_offset_x
      - .offset:         72
        .size:           8
        .value_kind:     hidden_global_offset_y
      - .offset:         80
        .size:           8
        .value_kind:     hidden_global_offset_z
      - .offset:         88
        .size:           2
        .value_kind:     hidden_grid_dims
    .group_segment_fixed_size: 31
    .kernarg_segment_align: 8
    .kernarg_segment_size: 280
    .language:       OpenCL C
    .language_version:
      - 2
      - 0
    .max_flat_workgroup_size: 64
    .name:           _Z28segmented_warp_reduce_kernelIahLj31ELj100EENSt9enable_ifIXsr15benchmark_utilsE35device_test_enabled_for_warp_size_vIXT1_EEEvE4typeEPKT_PT0_PS3_
    .private_segment_fixed_size: 0
    .sgpr_count:     18
    .sgpr_spill_count: 0
    .symbol:         _Z28segmented_warp_reduce_kernelIahLj31ELj100EENSt9enable_ifIXsr15benchmark_utilsE35device_test_enabled_for_warp_size_vIXT1_EEEvE4typeEPKT_PT0_PS3_.kd
    .uniform_work_group_size: 1
    .uses_dynamic_stack: false
    .vgpr_count:     12
    .vgpr_spill_count: 0
    .wavefront_size: 32
    .workgroup_processor_mode: 1
  - .args:
      - .address_space:  global
        .offset:         0
        .size:           8
        .value_kind:     global_buffer
      - .address_space:  global
        .offset:         8
        .size:           8
        .value_kind:     global_buffer
      - .address_space:  global
        .offset:         16
        .size:           8
        .value_kind:     global_buffer
      - .offset:         24
        .size:           4
        .value_kind:     hidden_block_count_x
      - .offset:         28
        .size:           4
        .value_kind:     hidden_block_count_y
      - .offset:         32
        .size:           4
        .value_kind:     hidden_block_count_z
      - .offset:         36
        .size:           2
        .value_kind:     hidden_group_size_x
      - .offset:         38
        .size:           2
        .value_kind:     hidden_group_size_y
      - .offset:         40
        .size:           2
        .value_kind:     hidden_group_size_z
      - .offset:         42
        .size:           2
        .value_kind:     hidden_remainder_x
      - .offset:         44
        .size:           2
        .value_kind:     hidden_remainder_y
      - .offset:         46
        .size:           2
        .value_kind:     hidden_remainder_z
      - .offset:         64
        .size:           8
        .value_kind:     hidden_global_offset_x
      - .offset:         72
        .size:           8
        .value_kind:     hidden_global_offset_y
      - .offset:         80
        .size:           8
        .value_kind:     hidden_global_offset_z
      - .offset:         88
        .size:           2
        .value_kind:     hidden_grid_dims
    .group_segment_fixed_size: 0
    .kernarg_segment_align: 8
    .kernarg_segment_size: 280
    .language:       OpenCL C
    .language_version:
      - 2
      - 0
    .max_flat_workgroup_size: 64
    .name:           _Z28segmented_warp_reduce_kernelIahLj32ELj100EENSt9enable_ifIXsr15benchmark_utilsE35device_test_enabled_for_warp_size_vIXT1_EEEvE4typeEPKT_PT0_PS3_
    .private_segment_fixed_size: 0
    .sgpr_count:     18
    .sgpr_spill_count: 0
    .symbol:         _Z28segmented_warp_reduce_kernelIahLj32ELj100EENSt9enable_ifIXsr15benchmark_utilsE35device_test_enabled_for_warp_size_vIXT1_EEEvE4typeEPKT_PT0_PS3_.kd
    .uniform_work_group_size: 1
    .uses_dynamic_stack: false
    .vgpr_count:     15
    .vgpr_spill_count: 0
    .wavefront_size: 32
    .workgroup_processor_mode: 1
  - .args:
      - .address_space:  global
        .offset:         0
        .size:           8
        .value_kind:     global_buffer
      - .address_space:  global
        .offset:         8
        .size:           8
        .value_kind:     global_buffer
      - .address_space:  global
        .offset:         16
        .size:           8
        .value_kind:     global_buffer
    .group_segment_fixed_size: 0
    .kernarg_segment_align: 8
    .kernarg_segment_size: 24
    .language:       OpenCL C
    .language_version:
      - 2
      - 0
    .max_flat_workgroup_size: 64
    .name:           _Z28segmented_warp_reduce_kernelIahLj37ELj100EENSt9enable_ifIXntsr15benchmark_utilsE35device_test_enabled_for_warp_size_vIXT1_EEEvE4typeEPKT_PT0_PS3_
    .private_segment_fixed_size: 0
    .sgpr_count:     0
    .sgpr_spill_count: 0
    .symbol:         _Z28segmented_warp_reduce_kernelIahLj37ELj100EENSt9enable_ifIXntsr15benchmark_utilsE35device_test_enabled_for_warp_size_vIXT1_EEEvE4typeEPKT_PT0_PS3_.kd
    .uniform_work_group_size: 1
    .uses_dynamic_stack: false
    .vgpr_count:     0
    .vgpr_spill_count: 0
    .wavefront_size: 32
    .workgroup_processor_mode: 1
  - .args:
      - .address_space:  global
        .offset:         0
        .size:           8
        .value_kind:     global_buffer
      - .address_space:  global
        .offset:         8
        .size:           8
        .value_kind:     global_buffer
      - .address_space:  global
        .offset:         16
        .size:           8
        .value_kind:     global_buffer
    .group_segment_fixed_size: 0
    .kernarg_segment_align: 8
    .kernarg_segment_size: 24
    .language:       OpenCL C
    .language_version:
      - 2
      - 0
    .max_flat_workgroup_size: 64
    .name:           _Z28segmented_warp_reduce_kernelIahLj61ELj100EENSt9enable_ifIXntsr15benchmark_utilsE35device_test_enabled_for_warp_size_vIXT1_EEEvE4typeEPKT_PT0_PS3_
    .private_segment_fixed_size: 0
    .sgpr_count:     0
    .sgpr_spill_count: 0
    .symbol:         _Z28segmented_warp_reduce_kernelIahLj61ELj100EENSt9enable_ifIXntsr15benchmark_utilsE35device_test_enabled_for_warp_size_vIXT1_EEEvE4typeEPKT_PT0_PS3_.kd
    .uniform_work_group_size: 1
    .uses_dynamic_stack: false
    .vgpr_count:     0
    .vgpr_spill_count: 0
    .wavefront_size: 32
    .workgroup_processor_mode: 1
  - .args:
      - .address_space:  global
        .offset:         0
        .size:           8
        .value_kind:     global_buffer
      - .address_space:  global
        .offset:         8
        .size:           8
        .value_kind:     global_buffer
      - .address_space:  global
        .offset:         16
        .size:           8
        .value_kind:     global_buffer
    .group_segment_fixed_size: 0
    .kernarg_segment_align: 8
    .kernarg_segment_size: 24
    .language:       OpenCL C
    .language_version:
      - 2
      - 0
    .max_flat_workgroup_size: 64
    .name:           _Z28segmented_warp_reduce_kernelIahLj64ELj100EENSt9enable_ifIXntsr15benchmark_utilsE35device_test_enabled_for_warp_size_vIXT1_EEEvE4typeEPKT_PT0_PS3_
    .private_segment_fixed_size: 0
    .sgpr_count:     0
    .sgpr_spill_count: 0
    .symbol:         _Z28segmented_warp_reduce_kernelIahLj64ELj100EENSt9enable_ifIXntsr15benchmark_utilsE35device_test_enabled_for_warp_size_vIXT1_EEEvE4typeEPKT_PT0_PS3_.kd
    .uniform_work_group_size: 1
    .uses_dynamic_stack: false
    .vgpr_count:     0
    .vgpr_spill_count: 0
    .wavefront_size: 32
    .workgroup_processor_mode: 1
  - .args:
      - .address_space:  global
        .offset:         0
        .size:           8
        .value_kind:     global_buffer
      - .address_space:  global
        .offset:         8
        .size:           8
        .value_kind:     global_buffer
      - .address_space:  global
        .offset:         16
        .size:           8
        .value_kind:     global_buffer
      - .offset:         24
        .size:           4
        .value_kind:     hidden_block_count_x
      - .offset:         28
        .size:           4
        .value_kind:     hidden_block_count_y
      - .offset:         32
        .size:           4
        .value_kind:     hidden_block_count_z
      - .offset:         36
        .size:           2
        .value_kind:     hidden_group_size_x
      - .offset:         38
        .size:           2
        .value_kind:     hidden_group_size_y
      - .offset:         40
        .size:           2
        .value_kind:     hidden_group_size_z
      - .offset:         42
        .size:           2
        .value_kind:     hidden_remainder_x
      - .offset:         44
        .size:           2
        .value_kind:     hidden_remainder_y
      - .offset:         46
        .size:           2
        .value_kind:     hidden_remainder_z
      - .offset:         64
        .size:           8
        .value_kind:     hidden_global_offset_x
      - .offset:         72
        .size:           8
        .value_kind:     hidden_global_offset_y
      - .offset:         80
        .size:           8
        .value_kind:     hidden_global_offset_z
      - .offset:         88
        .size:           2
        .value_kind:     hidden_grid_dims
    .group_segment_fixed_size: 15
    .kernarg_segment_align: 8
    .kernarg_segment_size: 280
    .language:       OpenCL C
    .language_version:
      - 2
      - 0
    .max_flat_workgroup_size: 64
    .name:           _Z28segmented_warp_reduce_kernelIhhLj15ELj100EENSt9enable_ifIXsr15benchmark_utilsE35device_test_enabled_for_warp_size_vIXT1_EEEvE4typeEPKT_PT0_PS3_
    .private_segment_fixed_size: 0
    .sgpr_count:     18
    .sgpr_spill_count: 0
    .symbol:         _Z28segmented_warp_reduce_kernelIhhLj15ELj100EENSt9enable_ifIXsr15benchmark_utilsE35device_test_enabled_for_warp_size_vIXT1_EEEvE4typeEPKT_PT0_PS3_.kd
    .uniform_work_group_size: 1
    .uses_dynamic_stack: false
    .vgpr_count:     11
    .vgpr_spill_count: 0
    .wavefront_size: 32
    .workgroup_processor_mode: 1
  - .args:
      - .address_space:  global
        .offset:         0
        .size:           8
        .value_kind:     global_buffer
      - .address_space:  global
        .offset:         8
        .size:           8
        .value_kind:     global_buffer
      - .address_space:  global
        .offset:         16
        .size:           8
        .value_kind:     global_buffer
      - .offset:         24
        .size:           4
        .value_kind:     hidden_block_count_x
      - .offset:         28
        .size:           4
        .value_kind:     hidden_block_count_y
      - .offset:         32
        .size:           4
        .value_kind:     hidden_block_count_z
      - .offset:         36
        .size:           2
        .value_kind:     hidden_group_size_x
      - .offset:         38
        .size:           2
        .value_kind:     hidden_group_size_y
      - .offset:         40
        .size:           2
        .value_kind:     hidden_group_size_z
      - .offset:         42
        .size:           2
        .value_kind:     hidden_remainder_x
      - .offset:         44
        .size:           2
        .value_kind:     hidden_remainder_y
      - .offset:         46
        .size:           2
        .value_kind:     hidden_remainder_z
      - .offset:         64
        .size:           8
        .value_kind:     hidden_global_offset_x
      - .offset:         72
        .size:           8
        .value_kind:     hidden_global_offset_y
      - .offset:         80
        .size:           8
        .value_kind:     hidden_global_offset_z
      - .offset:         88
        .size:           2
        .value_kind:     hidden_grid_dims
    .group_segment_fixed_size: 0
    .kernarg_segment_align: 8
    .kernarg_segment_size: 280
    .language:       OpenCL C
    .language_version:
      - 2
      - 0
    .max_flat_workgroup_size: 64
    .name:           _Z28segmented_warp_reduce_kernelIhhLj16ELj100EENSt9enable_ifIXsr15benchmark_utilsE35device_test_enabled_for_warp_size_vIXT1_EEEvE4typeEPKT_PT0_PS3_
    .private_segment_fixed_size: 0
    .sgpr_count:     18
    .sgpr_spill_count: 0
    .symbol:         _Z28segmented_warp_reduce_kernelIhhLj16ELj100EENSt9enable_ifIXsr15benchmark_utilsE35device_test_enabled_for_warp_size_vIXT1_EEEvE4typeEPKT_PT0_PS3_.kd
    .uniform_work_group_size: 1
    .uses_dynamic_stack: false
    .vgpr_count:     14
    .vgpr_spill_count: 0
    .wavefront_size: 32
    .workgroup_processor_mode: 1
  - .args:
      - .address_space:  global
        .offset:         0
        .size:           8
        .value_kind:     global_buffer
      - .address_space:  global
        .offset:         8
        .size:           8
        .value_kind:     global_buffer
      - .address_space:  global
        .offset:         16
        .size:           8
        .value_kind:     global_buffer
      - .offset:         24
        .size:           4
        .value_kind:     hidden_block_count_x
      - .offset:         28
        .size:           4
        .value_kind:     hidden_block_count_y
      - .offset:         32
        .size:           4
        .value_kind:     hidden_block_count_z
      - .offset:         36
        .size:           2
        .value_kind:     hidden_group_size_x
      - .offset:         38
        .size:           2
        .value_kind:     hidden_group_size_y
      - .offset:         40
        .size:           2
        .value_kind:     hidden_group_size_z
      - .offset:         42
        .size:           2
        .value_kind:     hidden_remainder_x
      - .offset:         44
        .size:           2
        .value_kind:     hidden_remainder_y
      - .offset:         46
        .size:           2
        .value_kind:     hidden_remainder_z
      - .offset:         64
        .size:           8
        .value_kind:     hidden_global_offset_x
      - .offset:         72
        .size:           8
        .value_kind:     hidden_global_offset_y
      - .offset:         80
        .size:           8
        .value_kind:     hidden_global_offset_z
      - .offset:         88
        .size:           2
        .value_kind:     hidden_grid_dims
    .group_segment_fixed_size: 31
    .kernarg_segment_align: 8
    .kernarg_segment_size: 280
    .language:       OpenCL C
    .language_version:
      - 2
      - 0
    .max_flat_workgroup_size: 64
    .name:           _Z28segmented_warp_reduce_kernelIhhLj31ELj100EENSt9enable_ifIXsr15benchmark_utilsE35device_test_enabled_for_warp_size_vIXT1_EEEvE4typeEPKT_PT0_PS3_
    .private_segment_fixed_size: 0
    .sgpr_count:     18
    .sgpr_spill_count: 0
    .symbol:         _Z28segmented_warp_reduce_kernelIhhLj31ELj100EENSt9enable_ifIXsr15benchmark_utilsE35device_test_enabled_for_warp_size_vIXT1_EEEvE4typeEPKT_PT0_PS3_.kd
    .uniform_work_group_size: 1
    .uses_dynamic_stack: false
    .vgpr_count:     12
    .vgpr_spill_count: 0
    .wavefront_size: 32
    .workgroup_processor_mode: 1
  - .args:
      - .address_space:  global
        .offset:         0
        .size:           8
        .value_kind:     global_buffer
      - .address_space:  global
        .offset:         8
        .size:           8
        .value_kind:     global_buffer
      - .address_space:  global
        .offset:         16
        .size:           8
        .value_kind:     global_buffer
      - .offset:         24
        .size:           4
        .value_kind:     hidden_block_count_x
      - .offset:         28
        .size:           4
        .value_kind:     hidden_block_count_y
      - .offset:         32
        .size:           4
        .value_kind:     hidden_block_count_z
      - .offset:         36
        .size:           2
        .value_kind:     hidden_group_size_x
      - .offset:         38
        .size:           2
        .value_kind:     hidden_group_size_y
      - .offset:         40
        .size:           2
        .value_kind:     hidden_group_size_z
      - .offset:         42
        .size:           2
        .value_kind:     hidden_remainder_x
      - .offset:         44
        .size:           2
        .value_kind:     hidden_remainder_y
      - .offset:         46
        .size:           2
        .value_kind:     hidden_remainder_z
      - .offset:         64
        .size:           8
        .value_kind:     hidden_global_offset_x
      - .offset:         72
        .size:           8
        .value_kind:     hidden_global_offset_y
      - .offset:         80
        .size:           8
        .value_kind:     hidden_global_offset_z
      - .offset:         88
        .size:           2
        .value_kind:     hidden_grid_dims
    .group_segment_fixed_size: 0
    .kernarg_segment_align: 8
    .kernarg_segment_size: 280
    .language:       OpenCL C
    .language_version:
      - 2
      - 0
    .max_flat_workgroup_size: 64
    .name:           _Z28segmented_warp_reduce_kernelIhhLj32ELj100EENSt9enable_ifIXsr15benchmark_utilsE35device_test_enabled_for_warp_size_vIXT1_EEEvE4typeEPKT_PT0_PS3_
    .private_segment_fixed_size: 0
    .sgpr_count:     18
    .sgpr_spill_count: 0
    .symbol:         _Z28segmented_warp_reduce_kernelIhhLj32ELj100EENSt9enable_ifIXsr15benchmark_utilsE35device_test_enabled_for_warp_size_vIXT1_EEEvE4typeEPKT_PT0_PS3_.kd
    .uniform_work_group_size: 1
    .uses_dynamic_stack: false
    .vgpr_count:     15
    .vgpr_spill_count: 0
    .wavefront_size: 32
    .workgroup_processor_mode: 1
  - .args:
      - .address_space:  global
        .offset:         0
        .size:           8
        .value_kind:     global_buffer
      - .address_space:  global
        .offset:         8
        .size:           8
        .value_kind:     global_buffer
      - .address_space:  global
        .offset:         16
        .size:           8
        .value_kind:     global_buffer
    .group_segment_fixed_size: 0
    .kernarg_segment_align: 8
    .kernarg_segment_size: 24
    .language:       OpenCL C
    .language_version:
      - 2
      - 0
    .max_flat_workgroup_size: 64
    .name:           _Z28segmented_warp_reduce_kernelIhhLj37ELj100EENSt9enable_ifIXntsr15benchmark_utilsE35device_test_enabled_for_warp_size_vIXT1_EEEvE4typeEPKT_PT0_PS3_
    .private_segment_fixed_size: 0
    .sgpr_count:     0
    .sgpr_spill_count: 0
    .symbol:         _Z28segmented_warp_reduce_kernelIhhLj37ELj100EENSt9enable_ifIXntsr15benchmark_utilsE35device_test_enabled_for_warp_size_vIXT1_EEEvE4typeEPKT_PT0_PS3_.kd
    .uniform_work_group_size: 1
    .uses_dynamic_stack: false
    .vgpr_count:     0
    .vgpr_spill_count: 0
    .wavefront_size: 32
    .workgroup_processor_mode: 1
  - .args:
      - .address_space:  global
        .offset:         0
        .size:           8
        .value_kind:     global_buffer
      - .address_space:  global
        .offset:         8
        .size:           8
        .value_kind:     global_buffer
      - .address_space:  global
        .offset:         16
        .size:           8
        .value_kind:     global_buffer
    .group_segment_fixed_size: 0
    .kernarg_segment_align: 8
    .kernarg_segment_size: 24
    .language:       OpenCL C
    .language_version:
      - 2
      - 0
    .max_flat_workgroup_size: 64
    .name:           _Z28segmented_warp_reduce_kernelIhhLj61ELj100EENSt9enable_ifIXntsr15benchmark_utilsE35device_test_enabled_for_warp_size_vIXT1_EEEvE4typeEPKT_PT0_PS3_
    .private_segment_fixed_size: 0
    .sgpr_count:     0
    .sgpr_spill_count: 0
    .symbol:         _Z28segmented_warp_reduce_kernelIhhLj61ELj100EENSt9enable_ifIXntsr15benchmark_utilsE35device_test_enabled_for_warp_size_vIXT1_EEEvE4typeEPKT_PT0_PS3_.kd
    .uniform_work_group_size: 1
    .uses_dynamic_stack: false
    .vgpr_count:     0
    .vgpr_spill_count: 0
    .wavefront_size: 32
    .workgroup_processor_mode: 1
  - .args:
      - .address_space:  global
        .offset:         0
        .size:           8
        .value_kind:     global_buffer
      - .address_space:  global
        .offset:         8
        .size:           8
        .value_kind:     global_buffer
      - .address_space:  global
        .offset:         16
        .size:           8
        .value_kind:     global_buffer
    .group_segment_fixed_size: 0
    .kernarg_segment_align: 8
    .kernarg_segment_size: 24
    .language:       OpenCL C
    .language_version:
      - 2
      - 0
    .max_flat_workgroup_size: 64
    .name:           _Z28segmented_warp_reduce_kernelIhhLj64ELj100EENSt9enable_ifIXntsr15benchmark_utilsE35device_test_enabled_for_warp_size_vIXT1_EEEvE4typeEPKT_PT0_PS3_
    .private_segment_fixed_size: 0
    .sgpr_count:     0
    .sgpr_spill_count: 0
    .symbol:         _Z28segmented_warp_reduce_kernelIhhLj64ELj100EENSt9enable_ifIXntsr15benchmark_utilsE35device_test_enabled_for_warp_size_vIXT1_EEEvE4typeEPKT_PT0_PS3_.kd
    .uniform_work_group_size: 1
    .uses_dynamic_stack: false
    .vgpr_count:     0
    .vgpr_spill_count: 0
    .wavefront_size: 32
    .workgroup_processor_mode: 1
amdhsa.target:   amdgcn-amd-amdhsa--gfx1100
amdhsa.version:
  - 1
  - 2
...

	.end_amdgpu_metadata
